;; amdgpu-corpus repo=ROCm/rocSOLVER kind=compiled arch=gfx950 opt=O3
	.amdgcn_target "amdgcn-amd-amdhsa--gfx950"
	.amdhsa_code_object_version 6
	.section	.text._ZN9rocsolver6v33100L10reset_infoIiiiEEvPT_T0_T1_S4_,"axG",@progbits,_ZN9rocsolver6v33100L10reset_infoIiiiEEvPT_T0_T1_S4_,comdat
	.globl	_ZN9rocsolver6v33100L10reset_infoIiiiEEvPT_T0_T1_S4_ ; -- Begin function _ZN9rocsolver6v33100L10reset_infoIiiiEEvPT_T0_T1_S4_
	.p2align	8
	.type	_ZN9rocsolver6v33100L10reset_infoIiiiEEvPT_T0_T1_S4_,@function
_ZN9rocsolver6v33100L10reset_infoIiiiEEvPT_T0_T1_S4_: ; @_ZN9rocsolver6v33100L10reset_infoIiiiEEvPT_T0_T1_S4_
; %bb.0:
	s_load_dword s3, s[0:1], 0x24
	s_load_dwordx4 s[4:7], s[0:1], 0x8
	s_waitcnt lgkmcnt(0)
	s_and_b32 s3, s3, 0xffff
	s_mul_i32 s2, s2, s3
	v_add_u32_e32 v0, s2, v0
	v_cmp_gt_i32_e32 vcc, s4, v0
	s_and_saveexec_b64 s[2:3], vcc
	s_cbranch_execz .LBB0_2
; %bb.1:
	s_load_dwordx2 s[0:1], s[0:1], 0x0
	v_ashrrev_i32_e32 v1, 31, v0
	v_mul_lo_u32 v2, v0, s6
	v_add_u32_e32 v2, s5, v2
	s_waitcnt lgkmcnt(0)
	v_lshl_add_u64 v[0:1], v[0:1], 2, s[0:1]
	global_store_dword v[0:1], v2, off
.LBB0_2:
	s_endpgm
	.section	.rodata,"a",@progbits
	.p2align	6, 0x0
	.amdhsa_kernel _ZN9rocsolver6v33100L10reset_infoIiiiEEvPT_T0_T1_S4_
		.amdhsa_group_segment_fixed_size 0
		.amdhsa_private_segment_fixed_size 0
		.amdhsa_kernarg_size 280
		.amdhsa_user_sgpr_count 2
		.amdhsa_user_sgpr_dispatch_ptr 0
		.amdhsa_user_sgpr_queue_ptr 0
		.amdhsa_user_sgpr_kernarg_segment_ptr 1
		.amdhsa_user_sgpr_dispatch_id 0
		.amdhsa_user_sgpr_kernarg_preload_length 0
		.amdhsa_user_sgpr_kernarg_preload_offset 0
		.amdhsa_user_sgpr_private_segment_size 0
		.amdhsa_uses_dynamic_stack 0
		.amdhsa_enable_private_segment 0
		.amdhsa_system_sgpr_workgroup_id_x 1
		.amdhsa_system_sgpr_workgroup_id_y 0
		.amdhsa_system_sgpr_workgroup_id_z 0
		.amdhsa_system_sgpr_workgroup_info 0
		.amdhsa_system_vgpr_workitem_id 0
		.amdhsa_next_free_vgpr 3
		.amdhsa_next_free_sgpr 8
		.amdhsa_accum_offset 4
		.amdhsa_reserve_vcc 1
		.amdhsa_float_round_mode_32 0
		.amdhsa_float_round_mode_16_64 0
		.amdhsa_float_denorm_mode_32 3
		.amdhsa_float_denorm_mode_16_64 3
		.amdhsa_dx10_clamp 1
		.amdhsa_ieee_mode 1
		.amdhsa_fp16_overflow 0
		.amdhsa_tg_split 0
		.amdhsa_exception_fp_ieee_invalid_op 0
		.amdhsa_exception_fp_denorm_src 0
		.amdhsa_exception_fp_ieee_div_zero 0
		.amdhsa_exception_fp_ieee_overflow 0
		.amdhsa_exception_fp_ieee_underflow 0
		.amdhsa_exception_fp_ieee_inexact 0
		.amdhsa_exception_int_div_zero 0
	.end_amdhsa_kernel
	.section	.text._ZN9rocsolver6v33100L10reset_infoIiiiEEvPT_T0_T1_S4_,"axG",@progbits,_ZN9rocsolver6v33100L10reset_infoIiiiEEvPT_T0_T1_S4_,comdat
.Lfunc_end0:
	.size	_ZN9rocsolver6v33100L10reset_infoIiiiEEvPT_T0_T1_S4_, .Lfunc_end0-_ZN9rocsolver6v33100L10reset_infoIiiiEEvPT_T0_T1_S4_
                                        ; -- End function
	.set _ZN9rocsolver6v33100L10reset_infoIiiiEEvPT_T0_T1_S4_.num_vgpr, 3
	.set _ZN9rocsolver6v33100L10reset_infoIiiiEEvPT_T0_T1_S4_.num_agpr, 0
	.set _ZN9rocsolver6v33100L10reset_infoIiiiEEvPT_T0_T1_S4_.numbered_sgpr, 8
	.set _ZN9rocsolver6v33100L10reset_infoIiiiEEvPT_T0_T1_S4_.num_named_barrier, 0
	.set _ZN9rocsolver6v33100L10reset_infoIiiiEEvPT_T0_T1_S4_.private_seg_size, 0
	.set _ZN9rocsolver6v33100L10reset_infoIiiiEEvPT_T0_T1_S4_.uses_vcc, 1
	.set _ZN9rocsolver6v33100L10reset_infoIiiiEEvPT_T0_T1_S4_.uses_flat_scratch, 0
	.set _ZN9rocsolver6v33100L10reset_infoIiiiEEvPT_T0_T1_S4_.has_dyn_sized_stack, 0
	.set _ZN9rocsolver6v33100L10reset_infoIiiiEEvPT_T0_T1_S4_.has_recursion, 0
	.set _ZN9rocsolver6v33100L10reset_infoIiiiEEvPT_T0_T1_S4_.has_indirect_call, 0
	.section	.AMDGPU.csdata,"",@progbits
; Kernel info:
; codeLenInByte = 96
; TotalNumSgprs: 14
; NumVgprs: 3
; NumAgprs: 0
; TotalNumVgprs: 3
; ScratchSize: 0
; MemoryBound: 0
; FloatMode: 240
; IeeeMode: 1
; LDSByteSize: 0 bytes/workgroup (compile time only)
; SGPRBlocks: 1
; VGPRBlocks: 0
; NumSGPRsForWavesPerEU: 14
; NumVGPRsForWavesPerEU: 3
; AccumOffset: 4
; Occupancy: 8
; WaveLimiterHint : 0
; COMPUTE_PGM_RSRC2:SCRATCH_EN: 0
; COMPUTE_PGM_RSRC2:USER_SGPR: 2
; COMPUTE_PGM_RSRC2:TRAP_HANDLER: 0
; COMPUTE_PGM_RSRC2:TGID_X_EN: 1
; COMPUTE_PGM_RSRC2:TGID_Y_EN: 0
; COMPUTE_PGM_RSRC2:TGID_Z_EN: 0
; COMPUTE_PGM_RSRC2:TIDIG_COMP_CNT: 0
; COMPUTE_PGM_RSRC3_GFX90A:ACCUM_OFFSET: 0
; COMPUTE_PGM_RSRC3_GFX90A:TG_SPLIT: 0
	.section	.text._ZN9rocsolver6v33100L10reset_infoIfiiEEvPT_T0_T1_S4_,"axG",@progbits,_ZN9rocsolver6v33100L10reset_infoIfiiEEvPT_T0_T1_S4_,comdat
	.globl	_ZN9rocsolver6v33100L10reset_infoIfiiEEvPT_T0_T1_S4_ ; -- Begin function _ZN9rocsolver6v33100L10reset_infoIfiiEEvPT_T0_T1_S4_
	.p2align	8
	.type	_ZN9rocsolver6v33100L10reset_infoIfiiEEvPT_T0_T1_S4_,@function
_ZN9rocsolver6v33100L10reset_infoIfiiEEvPT_T0_T1_S4_: ; @_ZN9rocsolver6v33100L10reset_infoIfiiEEvPT_T0_T1_S4_
; %bb.0:
	s_load_dword s3, s[0:1], 0x24
	s_load_dwordx4 s[4:7], s[0:1], 0x8
	s_waitcnt lgkmcnt(0)
	s_and_b32 s3, s3, 0xffff
	s_mul_i32 s2, s2, s3
	v_add_u32_e32 v0, s2, v0
	v_cmp_gt_i32_e32 vcc, s4, v0
	s_and_saveexec_b64 s[2:3], vcc
	s_cbranch_execz .LBB1_2
; %bb.1:
	s_load_dwordx2 s[0:1], s[0:1], 0x0
	v_mul_lo_u32 v1, v0, s6
	v_cvt_f32_i32_e32 v2, s5
	v_cvt_f32_i32_e32 v3, v1
	v_ashrrev_i32_e32 v1, 31, v0
	s_waitcnt lgkmcnt(0)
	v_lshl_add_u64 v[0:1], v[0:1], 2, s[0:1]
	v_add_f32_e32 v2, v2, v3
	global_store_dword v[0:1], v2, off
.LBB1_2:
	s_endpgm
	.section	.rodata,"a",@progbits
	.p2align	6, 0x0
	.amdhsa_kernel _ZN9rocsolver6v33100L10reset_infoIfiiEEvPT_T0_T1_S4_
		.amdhsa_group_segment_fixed_size 0
		.amdhsa_private_segment_fixed_size 0
		.amdhsa_kernarg_size 280
		.amdhsa_user_sgpr_count 2
		.amdhsa_user_sgpr_dispatch_ptr 0
		.amdhsa_user_sgpr_queue_ptr 0
		.amdhsa_user_sgpr_kernarg_segment_ptr 1
		.amdhsa_user_sgpr_dispatch_id 0
		.amdhsa_user_sgpr_kernarg_preload_length 0
		.amdhsa_user_sgpr_kernarg_preload_offset 0
		.amdhsa_user_sgpr_private_segment_size 0
		.amdhsa_uses_dynamic_stack 0
		.amdhsa_enable_private_segment 0
		.amdhsa_system_sgpr_workgroup_id_x 1
		.amdhsa_system_sgpr_workgroup_id_y 0
		.amdhsa_system_sgpr_workgroup_id_z 0
		.amdhsa_system_sgpr_workgroup_info 0
		.amdhsa_system_vgpr_workitem_id 0
		.amdhsa_next_free_vgpr 4
		.amdhsa_next_free_sgpr 8
		.amdhsa_accum_offset 4
		.amdhsa_reserve_vcc 1
		.amdhsa_float_round_mode_32 0
		.amdhsa_float_round_mode_16_64 0
		.amdhsa_float_denorm_mode_32 3
		.amdhsa_float_denorm_mode_16_64 3
		.amdhsa_dx10_clamp 1
		.amdhsa_ieee_mode 1
		.amdhsa_fp16_overflow 0
		.amdhsa_tg_split 0
		.amdhsa_exception_fp_ieee_invalid_op 0
		.amdhsa_exception_fp_denorm_src 0
		.amdhsa_exception_fp_ieee_div_zero 0
		.amdhsa_exception_fp_ieee_overflow 0
		.amdhsa_exception_fp_ieee_underflow 0
		.amdhsa_exception_fp_ieee_inexact 0
		.amdhsa_exception_int_div_zero 0
	.end_amdhsa_kernel
	.section	.text._ZN9rocsolver6v33100L10reset_infoIfiiEEvPT_T0_T1_S4_,"axG",@progbits,_ZN9rocsolver6v33100L10reset_infoIfiiEEvPT_T0_T1_S4_,comdat
.Lfunc_end1:
	.size	_ZN9rocsolver6v33100L10reset_infoIfiiEEvPT_T0_T1_S4_, .Lfunc_end1-_ZN9rocsolver6v33100L10reset_infoIfiiEEvPT_T0_T1_S4_
                                        ; -- End function
	.set _ZN9rocsolver6v33100L10reset_infoIfiiEEvPT_T0_T1_S4_.num_vgpr, 4
	.set _ZN9rocsolver6v33100L10reset_infoIfiiEEvPT_T0_T1_S4_.num_agpr, 0
	.set _ZN9rocsolver6v33100L10reset_infoIfiiEEvPT_T0_T1_S4_.numbered_sgpr, 8
	.set _ZN9rocsolver6v33100L10reset_infoIfiiEEvPT_T0_T1_S4_.num_named_barrier, 0
	.set _ZN9rocsolver6v33100L10reset_infoIfiiEEvPT_T0_T1_S4_.private_seg_size, 0
	.set _ZN9rocsolver6v33100L10reset_infoIfiiEEvPT_T0_T1_S4_.uses_vcc, 1
	.set _ZN9rocsolver6v33100L10reset_infoIfiiEEvPT_T0_T1_S4_.uses_flat_scratch, 0
	.set _ZN9rocsolver6v33100L10reset_infoIfiiEEvPT_T0_T1_S4_.has_dyn_sized_stack, 0
	.set _ZN9rocsolver6v33100L10reset_infoIfiiEEvPT_T0_T1_S4_.has_recursion, 0
	.set _ZN9rocsolver6v33100L10reset_infoIfiiEEvPT_T0_T1_S4_.has_indirect_call, 0
	.section	.AMDGPU.csdata,"",@progbits
; Kernel info:
; codeLenInByte = 104
; TotalNumSgprs: 14
; NumVgprs: 4
; NumAgprs: 0
; TotalNumVgprs: 4
; ScratchSize: 0
; MemoryBound: 0
; FloatMode: 240
; IeeeMode: 1
; LDSByteSize: 0 bytes/workgroup (compile time only)
; SGPRBlocks: 1
; VGPRBlocks: 0
; NumSGPRsForWavesPerEU: 14
; NumVGPRsForWavesPerEU: 4
; AccumOffset: 4
; Occupancy: 8
; WaveLimiterHint : 0
; COMPUTE_PGM_RSRC2:SCRATCH_EN: 0
; COMPUTE_PGM_RSRC2:USER_SGPR: 2
; COMPUTE_PGM_RSRC2:TRAP_HANDLER: 0
; COMPUTE_PGM_RSRC2:TGID_X_EN: 1
; COMPUTE_PGM_RSRC2:TGID_Y_EN: 0
; COMPUTE_PGM_RSRC2:TGID_Z_EN: 0
; COMPUTE_PGM_RSRC2:TIDIG_COMP_CNT: 0
; COMPUTE_PGM_RSRC3_GFX90A:ACCUM_OFFSET: 0
; COMPUTE_PGM_RSRC3_GFX90A:TG_SPLIT: 0
	.section	.text._ZN9rocsolver6v33100L8copy_matIfPfS2_NS0_7no_maskEEEviiT0_iilT1_iilT2_13rocblas_fill_17rocblas_diagonal_,"axG",@progbits,_ZN9rocsolver6v33100L8copy_matIfPfS2_NS0_7no_maskEEEviiT0_iilT1_iilT2_13rocblas_fill_17rocblas_diagonal_,comdat
	.globl	_ZN9rocsolver6v33100L8copy_matIfPfS2_NS0_7no_maskEEEviiT0_iilT1_iilT2_13rocblas_fill_17rocblas_diagonal_ ; -- Begin function _ZN9rocsolver6v33100L8copy_matIfPfS2_NS0_7no_maskEEEviiT0_iilT1_iilT2_13rocblas_fill_17rocblas_diagonal_
	.p2align	8
	.type	_ZN9rocsolver6v33100L8copy_matIfPfS2_NS0_7no_maskEEEviiT0_iilT1_iilT2_13rocblas_fill_17rocblas_diagonal_,@function
_ZN9rocsolver6v33100L8copy_matIfPfS2_NS0_7no_maskEEEviiT0_iilT1_iilT2_13rocblas_fill_17rocblas_diagonal_: ; @_ZN9rocsolver6v33100L8copy_matIfPfS2_NS0_7no_maskEEEviiT0_iilT1_iilT2_13rocblas_fill_17rocblas_diagonal_
; %bb.0:
	s_load_dword s5, s[0:1], 0x54
	s_load_dwordx2 s[6:7], s[0:1], 0x0
	v_bfe_u32 v1, v0, 10, 10
	v_and_b32_e32 v0, 0x3ff, v0
	s_waitcnt lgkmcnt(0)
	s_lshr_b32 s8, s5, 16
	s_mul_i32 s3, s3, s8
	v_add_u32_e32 v1, s3, v1
	s_and_b32 s3, s5, 0xffff
	s_mul_i32 s2, s2, s3
	v_add_u32_e32 v0, s2, v0
	v_cmp_gt_u32_e32 vcc, s6, v0
	v_cmp_gt_u32_e64 s[2:3], s7, v1
	s_and_b64 s[2:3], s[2:3], vcc
	s_and_saveexec_b64 s[6:7], s[2:3]
	s_cbranch_execz .LBB2_14
; %bb.1:
	s_load_dwordx2 s[6:7], s[0:1], 0x3c
	s_waitcnt lgkmcnt(0)
	s_cmpk_lt_i32 s6, 0x7a
	s_cbranch_scc1 .LBB2_4
; %bb.2:
	s_cmpk_gt_i32 s6, 0x7a
	s_cbranch_scc0 .LBB2_5
; %bb.3:
	s_cmpk_lg_i32 s6, 0x7b
	s_mov_b64 s[8:9], -1
	s_cselect_b64 s[10:11], -1, 0
	s_cbranch_execz .LBB2_6
	s_branch .LBB2_7
.LBB2_4:
	s_mov_b64 s[10:11], 0
	s_mov_b64 s[8:9], 0
	s_cbranch_execnz .LBB2_8
	s_branch .LBB2_10
.LBB2_5:
	s_mov_b64 s[8:9], 0
	s_mov_b64 s[10:11], 0
.LBB2_6:
	v_cmp_gt_u32_e32 vcc, v0, v1
	v_cmp_le_u32_e64 s[2:3], v0, v1
	s_andn2_b64 s[8:9], s[8:9], exec
	s_and_b64 s[12:13], vcc, exec
	s_andn2_b64 s[10:11], s[10:11], exec
	s_and_b64 s[2:3], s[2:3], exec
	s_or_b64 s[8:9], s[8:9], s[12:13]
	s_or_b64 s[10:11], s[10:11], s[2:3]
.LBB2_7:
	s_branch .LBB2_10
.LBB2_8:
	s_cmpk_eq_i32 s6, 0x79
	s_mov_b64 s[10:11], -1
	s_cbranch_scc0 .LBB2_10
; %bb.9:
	v_cmp_gt_u32_e32 vcc, v1, v0
	v_cmp_le_u32_e64 s[2:3], v1, v0
	s_andn2_b64 s[8:9], s[8:9], exec
	s_and_b64 s[10:11], vcc, exec
	s_or_b64 s[8:9], s[8:9], s[10:11]
	s_orn2_b64 s[10:11], s[2:3], exec
.LBB2_10:
	s_and_saveexec_b64 s[2:3], s[10:11]
; %bb.11:
	s_cmpk_eq_i32 s7, 0x83
	s_cselect_b64 s[6:7], -1, 0
	v_cmp_eq_u32_e32 vcc, v0, v1
	s_and_b64 s[6:7], s[6:7], vcc
	s_andn2_b64 s[8:9], s[8:9], exec
	s_and_b64 s[6:7], s[6:7], exec
	s_or_b64 s[8:9], s[8:9], s[6:7]
; %bb.12:
	s_or_b64 exec, exec, s[2:3]
	s_and_b64 exec, exec, s[8:9]
	s_cbranch_execz .LBB2_14
; %bb.13:
	s_load_dwordx8 s[8:15], s[0:1], 0x8
	s_waitcnt lgkmcnt(0)
	s_mul_i32 s5, s13, s4
	s_mul_hi_u32 s7, s12, s4
	s_mul_i32 s6, s12, s4
	s_add_i32 s7, s7, s5
	s_ashr_i32 s3, s10, 31
	s_lshl_b64 s[6:7], s[6:7], 2
	s_mov_b32 s2, s10
	s_add_u32 s5, s8, s6
	s_addc_u32 s6, s9, s7
	s_lshl_b64 s[2:3], s[2:3], 2
	s_add_u32 s2, s5, s2
	s_addc_u32 s3, s6, s3
	v_mad_u64_u32 v[2:3], s[6:7], v1, s11, v[0:1]
	v_mov_b32_e32 v3, 0
	v_lshl_add_u64 v[4:5], v[2:3], 2, s[2:3]
	global_load_dword v2, v[4:5], off
	s_load_dwordx4 s[8:11], s[0:1], 0x28
	s_waitcnt lgkmcnt(0)
	s_mul_i32 s2, s11, s4
	s_mul_hi_u32 s3, s10, s4
	s_add_i32 s3, s3, s2
	s_mul_i32 s2, s10, s4
	s_ashr_i32 s1, s8, 31
	s_lshl_b64 s[2:3], s[2:3], 2
	s_mov_b32 s0, s8
	s_add_u32 s2, s14, s2
	s_addc_u32 s3, s15, s3
	s_lshl_b64 s[0:1], s[0:1], 2
	s_add_u32 s0, s2, s0
	s_addc_u32 s1, s3, s1
	v_mad_u64_u32 v[0:1], s[2:3], v1, s9, v[0:1]
	v_mov_b32_e32 v1, v3
	v_lshl_add_u64 v[0:1], v[0:1], 2, s[0:1]
	s_waitcnt vmcnt(0)
	global_store_dword v[0:1], v2, off
.LBB2_14:
	s_endpgm
	.section	.rodata,"a",@progbits
	.p2align	6, 0x0
	.amdhsa_kernel _ZN9rocsolver6v33100L8copy_matIfPfS2_NS0_7no_maskEEEviiT0_iilT1_iilT2_13rocblas_fill_17rocblas_diagonal_
		.amdhsa_group_segment_fixed_size 0
		.amdhsa_private_segment_fixed_size 0
		.amdhsa_kernarg_size 328
		.amdhsa_user_sgpr_count 2
		.amdhsa_user_sgpr_dispatch_ptr 0
		.amdhsa_user_sgpr_queue_ptr 0
		.amdhsa_user_sgpr_kernarg_segment_ptr 1
		.amdhsa_user_sgpr_dispatch_id 0
		.amdhsa_user_sgpr_kernarg_preload_length 0
		.amdhsa_user_sgpr_kernarg_preload_offset 0
		.amdhsa_user_sgpr_private_segment_size 0
		.amdhsa_uses_dynamic_stack 0
		.amdhsa_enable_private_segment 0
		.amdhsa_system_sgpr_workgroup_id_x 1
		.amdhsa_system_sgpr_workgroup_id_y 1
		.amdhsa_system_sgpr_workgroup_id_z 1
		.amdhsa_system_sgpr_workgroup_info 0
		.amdhsa_system_vgpr_workitem_id 1
		.amdhsa_next_free_vgpr 6
		.amdhsa_next_free_sgpr 16
		.amdhsa_accum_offset 8
		.amdhsa_reserve_vcc 1
		.amdhsa_float_round_mode_32 0
		.amdhsa_float_round_mode_16_64 0
		.amdhsa_float_denorm_mode_32 3
		.amdhsa_float_denorm_mode_16_64 3
		.amdhsa_dx10_clamp 1
		.amdhsa_ieee_mode 1
		.amdhsa_fp16_overflow 0
		.amdhsa_tg_split 0
		.amdhsa_exception_fp_ieee_invalid_op 0
		.amdhsa_exception_fp_denorm_src 0
		.amdhsa_exception_fp_ieee_div_zero 0
		.amdhsa_exception_fp_ieee_overflow 0
		.amdhsa_exception_fp_ieee_underflow 0
		.amdhsa_exception_fp_ieee_inexact 0
		.amdhsa_exception_int_div_zero 0
	.end_amdhsa_kernel
	.section	.text._ZN9rocsolver6v33100L8copy_matIfPfS2_NS0_7no_maskEEEviiT0_iilT1_iilT2_13rocblas_fill_17rocblas_diagonal_,"axG",@progbits,_ZN9rocsolver6v33100L8copy_matIfPfS2_NS0_7no_maskEEEviiT0_iilT1_iilT2_13rocblas_fill_17rocblas_diagonal_,comdat
.Lfunc_end2:
	.size	_ZN9rocsolver6v33100L8copy_matIfPfS2_NS0_7no_maskEEEviiT0_iilT1_iilT2_13rocblas_fill_17rocblas_diagonal_, .Lfunc_end2-_ZN9rocsolver6v33100L8copy_matIfPfS2_NS0_7no_maskEEEviiT0_iilT1_iilT2_13rocblas_fill_17rocblas_diagonal_
                                        ; -- End function
	.set _ZN9rocsolver6v33100L8copy_matIfPfS2_NS0_7no_maskEEEviiT0_iilT1_iilT2_13rocblas_fill_17rocblas_diagonal_.num_vgpr, 6
	.set _ZN9rocsolver6v33100L8copy_matIfPfS2_NS0_7no_maskEEEviiT0_iilT1_iilT2_13rocblas_fill_17rocblas_diagonal_.num_agpr, 0
	.set _ZN9rocsolver6v33100L8copy_matIfPfS2_NS0_7no_maskEEEviiT0_iilT1_iilT2_13rocblas_fill_17rocblas_diagonal_.numbered_sgpr, 16
	.set _ZN9rocsolver6v33100L8copy_matIfPfS2_NS0_7no_maskEEEviiT0_iilT1_iilT2_13rocblas_fill_17rocblas_diagonal_.num_named_barrier, 0
	.set _ZN9rocsolver6v33100L8copy_matIfPfS2_NS0_7no_maskEEEviiT0_iilT1_iilT2_13rocblas_fill_17rocblas_diagonal_.private_seg_size, 0
	.set _ZN9rocsolver6v33100L8copy_matIfPfS2_NS0_7no_maskEEEviiT0_iilT1_iilT2_13rocblas_fill_17rocblas_diagonal_.uses_vcc, 1
	.set _ZN9rocsolver6v33100L8copy_matIfPfS2_NS0_7no_maskEEEviiT0_iilT1_iilT2_13rocblas_fill_17rocblas_diagonal_.uses_flat_scratch, 0
	.set _ZN9rocsolver6v33100L8copy_matIfPfS2_NS0_7no_maskEEEviiT0_iilT1_iilT2_13rocblas_fill_17rocblas_diagonal_.has_dyn_sized_stack, 0
	.set _ZN9rocsolver6v33100L8copy_matIfPfS2_NS0_7no_maskEEEviiT0_iilT1_iilT2_13rocblas_fill_17rocblas_diagonal_.has_recursion, 0
	.set _ZN9rocsolver6v33100L8copy_matIfPfS2_NS0_7no_maskEEEviiT0_iilT1_iilT2_13rocblas_fill_17rocblas_diagonal_.has_indirect_call, 0
	.section	.AMDGPU.csdata,"",@progbits
; Kernel info:
; codeLenInByte = 468
; TotalNumSgprs: 22
; NumVgprs: 6
; NumAgprs: 0
; TotalNumVgprs: 6
; ScratchSize: 0
; MemoryBound: 0
; FloatMode: 240
; IeeeMode: 1
; LDSByteSize: 0 bytes/workgroup (compile time only)
; SGPRBlocks: 2
; VGPRBlocks: 0
; NumSGPRsForWavesPerEU: 22
; NumVGPRsForWavesPerEU: 6
; AccumOffset: 8
; Occupancy: 8
; WaveLimiterHint : 0
; COMPUTE_PGM_RSRC2:SCRATCH_EN: 0
; COMPUTE_PGM_RSRC2:USER_SGPR: 2
; COMPUTE_PGM_RSRC2:TRAP_HANDLER: 0
; COMPUTE_PGM_RSRC2:TGID_X_EN: 1
; COMPUTE_PGM_RSRC2:TGID_Y_EN: 1
; COMPUTE_PGM_RSRC2:TGID_Z_EN: 1
; COMPUTE_PGM_RSRC2:TIDIG_COMP_CNT: 1
; COMPUTE_PGM_RSRC3_GFX90A:ACCUM_OFFSET: 1
; COMPUTE_PGM_RSRC3_GFX90A:TG_SPLIT: 0
	.section	.text._ZN9rocsolver6v33100L18stebz_case1_kernelIfPfEEv15rocblas_erange_T_S4_T0_ilPiS6_PS4_lS6_lS6_li,"axG",@progbits,_ZN9rocsolver6v33100L18stebz_case1_kernelIfPfEEv15rocblas_erange_T_S4_T0_ilPiS6_PS4_lS6_lS6_li,comdat
	.globl	_ZN9rocsolver6v33100L18stebz_case1_kernelIfPfEEv15rocblas_erange_T_S4_T0_ilPiS6_PS4_lS6_lS6_li ; -- Begin function _ZN9rocsolver6v33100L18stebz_case1_kernelIfPfEEv15rocblas_erange_T_S4_T0_ilPiS6_PS4_lS6_lS6_li
	.p2align	8
	.type	_ZN9rocsolver6v33100L18stebz_case1_kernelIfPfEEv15rocblas_erange_T_S4_T0_ilPiS6_PS4_lS6_lS6_li,@function
_ZN9rocsolver6v33100L18stebz_case1_kernelIfPfEEv15rocblas_erange_T_S4_T0_ilPiS6_PS4_lS6_lS6_li: ; @_ZN9rocsolver6v33100L18stebz_case1_kernelIfPfEEv15rocblas_erange_T_S4_T0_ilPiS6_PS4_lS6_lS6_li
; %bb.0:
	s_load_dword s3, s[0:1], 0x7c
	s_load_dword s4, s[0:1], 0x68
	s_waitcnt lgkmcnt(0)
	s_and_b32 s3, s3, 0xffff
	s_mul_i32 s2, s2, s3
	v_add_u32_e32 v0, s2, v0
	v_cmp_gt_i32_e32 vcc, s4, v0
	s_and_saveexec_b64 s[2:3], vcc
	s_cbranch_execz .LBB3_7
; %bb.1:
	s_load_dword s2, s[0:1], 0x18
	s_load_dwordx16 s[4:19], s[0:1], 0x20
	s_load_dwordx2 s[20:21], s[0:1], 0x10
	v_ashrrev_i32_e32 v1, 31, v0
	s_waitcnt lgkmcnt(0)
	s_ashr_i32 s3, s2, 31
	v_mul_lo_u32 v4, s5, v0
	v_mul_lo_u32 v5, s4, v1
	v_mad_u64_u32 v[2:3], s[4:5], s4, v0, 0
	v_add3_u32 v3, v3, v5, v4
	v_lshl_add_u64 v[2:3], v[2:3], 2, s[20:21]
	v_lshl_add_u64 v[2:3], s[2:3], 2, v[2:3]
	global_load_dword v4, v[2:3], off
	s_load_dwordx4 s[20:23], s[0:1], 0x0
	s_load_dwordx2 s[2:3], s[0:1], 0x60
	v_mov_b32_e32 v2, s8
	v_mov_b32_e32 v3, s9
	;; [unrolled: 1-line block ×3, first 2 shown]
	s_waitcnt lgkmcnt(0)
	s_cmpk_lg_i32 s20, 0xe8
	v_mul_lo_u32 v5, s3, v0
	v_mul_lo_u32 v10, s2, v1
	v_mad_u64_u32 v[8:9], s[0:1], s2, v0, 0
	s_cselect_b64 s[2:3], -1, 0
	v_mov_b32_e32 v7, s19
	v_add3_u32 v9, v9, v10, v5
	v_lshl_add_u64 v[2:3], v[0:1], 2, v[2:3]
	v_mov_b32_e32 v5, 1
	s_and_b64 vcc, exec, s[2:3]
	v_lshl_add_u64 v[6:7], v[8:9], 2, v[6:7]
	global_store_dword v[2:3], v5, off
	global_store_dword v[6:7], v5, off
	s_cbranch_vccnz .LBB3_3
; %bb.2:
	s_waitcnt vmcnt(2)
	v_cmp_nge_f32_e32 vcc, s21, v4
	v_cmp_nlt_f32_e64 s[0:1], s22, v4
	s_and_b64 s[4:5], vcc, s[0:1]
	s_andn2_b64 s[2:3], s[2:3], exec
	s_and_b64 s[4:5], s[4:5], exec
	s_mov_b64 s[0:1], -1
	s_or_b64 s[2:3], s[2:3], s[4:5]
	v_lshl_add_u64 v[2:3], v[0:1], 2, s[6:7]
	s_and_saveexec_b64 s[4:5], s[2:3]
	s_xor_b64 s[2:3], exec, s[4:5]
	s_cbranch_execnz .LBB3_4
	s_branch .LBB3_5
.LBB3_3:
	s_mov_b64 s[0:1], 0
	v_lshl_add_u64 v[2:3], v[0:1], 2, s[6:7]
	s_and_saveexec_b64 s[4:5], s[2:3]
	s_xor_b64 s[2:3], exec, s[4:5]
	s_cbranch_execz .LBB3_5
.LBB3_4:
	v_mul_lo_u32 v5, s13, v0
	v_mul_lo_u32 v12, s12, v1
	v_mad_u64_u32 v[10:11], s[4:5], s12, v0, 0
	v_mov_b32_e32 v6, s10
	v_mov_b32_e32 v7, s11
	v_add3_u32 v11, v11, v12, v5
	v_lshl_add_u64 v[6:7], v[10:11], 2, v[6:7]
	v_mul_lo_u32 v5, s17, v0
	v_mul_lo_u32 v10, s16, v1
	v_mad_u64_u32 v[0:1], s[4:5], s16, v0, 0
	v_mov_b32_e32 v8, s14
	v_mov_b32_e32 v9, s15
	v_add3_u32 v1, v1, v10, v5
	v_mov_b32_e32 v5, 1
	v_lshl_add_u64 v[0:1], v[0:1], 2, v[8:9]
	global_store_dword v[2:3], v5, off
	s_waitcnt vmcnt(3)
	global_store_dword v[6:7], v4, off
	global_store_dword v[0:1], v5, off
	s_andn2_b64 s[0:1], s[0:1], exec
.LBB3_5:
	s_or_b64 exec, exec, s[2:3]
	s_and_b64 exec, exec, s[0:1]
	s_cbranch_execz .LBB3_7
; %bb.6:
	v_mov_b32_e32 v0, 0
	global_store_dword v[2:3], v0, off
.LBB3_7:
	s_endpgm
	.section	.rodata,"a",@progbits
	.p2align	6, 0x0
	.amdhsa_kernel _ZN9rocsolver6v33100L18stebz_case1_kernelIfPfEEv15rocblas_erange_T_S4_T0_ilPiS6_PS4_lS6_lS6_li
		.amdhsa_group_segment_fixed_size 0
		.amdhsa_private_segment_fixed_size 0
		.amdhsa_kernarg_size 368
		.amdhsa_user_sgpr_count 2
		.amdhsa_user_sgpr_dispatch_ptr 0
		.amdhsa_user_sgpr_queue_ptr 0
		.amdhsa_user_sgpr_kernarg_segment_ptr 1
		.amdhsa_user_sgpr_dispatch_id 0
		.amdhsa_user_sgpr_kernarg_preload_length 0
		.amdhsa_user_sgpr_kernarg_preload_offset 0
		.amdhsa_user_sgpr_private_segment_size 0
		.amdhsa_uses_dynamic_stack 0
		.amdhsa_enable_private_segment 0
		.amdhsa_system_sgpr_workgroup_id_x 1
		.amdhsa_system_sgpr_workgroup_id_y 0
		.amdhsa_system_sgpr_workgroup_id_z 0
		.amdhsa_system_sgpr_workgroup_info 0
		.amdhsa_system_vgpr_workitem_id 0
		.amdhsa_next_free_vgpr 13
		.amdhsa_next_free_sgpr 24
		.amdhsa_accum_offset 16
		.amdhsa_reserve_vcc 1
		.amdhsa_float_round_mode_32 0
		.amdhsa_float_round_mode_16_64 0
		.amdhsa_float_denorm_mode_32 3
		.amdhsa_float_denorm_mode_16_64 3
		.amdhsa_dx10_clamp 1
		.amdhsa_ieee_mode 1
		.amdhsa_fp16_overflow 0
		.amdhsa_tg_split 0
		.amdhsa_exception_fp_ieee_invalid_op 0
		.amdhsa_exception_fp_denorm_src 0
		.amdhsa_exception_fp_ieee_div_zero 0
		.amdhsa_exception_fp_ieee_overflow 0
		.amdhsa_exception_fp_ieee_underflow 0
		.amdhsa_exception_fp_ieee_inexact 0
		.amdhsa_exception_int_div_zero 0
	.end_amdhsa_kernel
	.section	.text._ZN9rocsolver6v33100L18stebz_case1_kernelIfPfEEv15rocblas_erange_T_S4_T0_ilPiS6_PS4_lS6_lS6_li,"axG",@progbits,_ZN9rocsolver6v33100L18stebz_case1_kernelIfPfEEv15rocblas_erange_T_S4_T0_ilPiS6_PS4_lS6_lS6_li,comdat
.Lfunc_end3:
	.size	_ZN9rocsolver6v33100L18stebz_case1_kernelIfPfEEv15rocblas_erange_T_S4_T0_ilPiS6_PS4_lS6_lS6_li, .Lfunc_end3-_ZN9rocsolver6v33100L18stebz_case1_kernelIfPfEEv15rocblas_erange_T_S4_T0_ilPiS6_PS4_lS6_lS6_li
                                        ; -- End function
	.set _ZN9rocsolver6v33100L18stebz_case1_kernelIfPfEEv15rocblas_erange_T_S4_T0_ilPiS6_PS4_lS6_lS6_li.num_vgpr, 13
	.set _ZN9rocsolver6v33100L18stebz_case1_kernelIfPfEEv15rocblas_erange_T_S4_T0_ilPiS6_PS4_lS6_lS6_li.num_agpr, 0
	.set _ZN9rocsolver6v33100L18stebz_case1_kernelIfPfEEv15rocblas_erange_T_S4_T0_ilPiS6_PS4_lS6_lS6_li.numbered_sgpr, 24
	.set _ZN9rocsolver6v33100L18stebz_case1_kernelIfPfEEv15rocblas_erange_T_S4_T0_ilPiS6_PS4_lS6_lS6_li.num_named_barrier, 0
	.set _ZN9rocsolver6v33100L18stebz_case1_kernelIfPfEEv15rocblas_erange_T_S4_T0_ilPiS6_PS4_lS6_lS6_li.private_seg_size, 0
	.set _ZN9rocsolver6v33100L18stebz_case1_kernelIfPfEEv15rocblas_erange_T_S4_T0_ilPiS6_PS4_lS6_lS6_li.uses_vcc, 1
	.set _ZN9rocsolver6v33100L18stebz_case1_kernelIfPfEEv15rocblas_erange_T_S4_T0_ilPiS6_PS4_lS6_lS6_li.uses_flat_scratch, 0
	.set _ZN9rocsolver6v33100L18stebz_case1_kernelIfPfEEv15rocblas_erange_T_S4_T0_ilPiS6_PS4_lS6_lS6_li.has_dyn_sized_stack, 0
	.set _ZN9rocsolver6v33100L18stebz_case1_kernelIfPfEEv15rocblas_erange_T_S4_T0_ilPiS6_PS4_lS6_lS6_li.has_recursion, 0
	.set _ZN9rocsolver6v33100L18stebz_case1_kernelIfPfEEv15rocblas_erange_T_S4_T0_ilPiS6_PS4_lS6_lS6_li.has_indirect_call, 0
	.section	.AMDGPU.csdata,"",@progbits
; Kernel info:
; codeLenInByte = 504
; TotalNumSgprs: 30
; NumVgprs: 13
; NumAgprs: 0
; TotalNumVgprs: 13
; ScratchSize: 0
; MemoryBound: 0
; FloatMode: 240
; IeeeMode: 1
; LDSByteSize: 0 bytes/workgroup (compile time only)
; SGPRBlocks: 3
; VGPRBlocks: 1
; NumSGPRsForWavesPerEU: 30
; NumVGPRsForWavesPerEU: 13
; AccumOffset: 16
; Occupancy: 8
; WaveLimiterHint : 0
; COMPUTE_PGM_RSRC2:SCRATCH_EN: 0
; COMPUTE_PGM_RSRC2:USER_SGPR: 2
; COMPUTE_PGM_RSRC2:TRAP_HANDLER: 0
; COMPUTE_PGM_RSRC2:TGID_X_EN: 1
; COMPUTE_PGM_RSRC2:TGID_Y_EN: 0
; COMPUTE_PGM_RSRC2:TGID_Z_EN: 0
; COMPUTE_PGM_RSRC2:TIDIG_COMP_CNT: 0
; COMPUTE_PGM_RSRC3_GFX90A:ACCUM_OFFSET: 3
; COMPUTE_PGM_RSRC3_GFX90A:TG_SPLIT: 0
	.section	.text._ZN9rocsolver6v33100L22stebz_splitting_kernelIfPfEEv15rocblas_erange_iT_S4_iiT0_iiS5_iiPiPS4_lS6_lS6_S7_S7_S7_S7_S6_S4_S4_,"axG",@progbits,_ZN9rocsolver6v33100L22stebz_splitting_kernelIfPfEEv15rocblas_erange_iT_S4_iiT0_iiS5_iiPiPS4_lS6_lS6_S7_S7_S7_S7_S6_S4_S4_,comdat
	.globl	_ZN9rocsolver6v33100L22stebz_splitting_kernelIfPfEEv15rocblas_erange_iT_S4_iiT0_iiS5_iiPiPS4_lS6_lS6_S7_S7_S7_S7_S6_S4_S4_ ; -- Begin function _ZN9rocsolver6v33100L22stebz_splitting_kernelIfPfEEv15rocblas_erange_iT_S4_iiT0_iiS5_iiPiPS4_lS6_lS6_S7_S7_S7_S7_S6_S4_S4_
	.p2align	8
	.type	_ZN9rocsolver6v33100L22stebz_splitting_kernelIfPfEEv15rocblas_erange_iT_S4_iiT0_iiS5_iiPiPS4_lS6_lS6_S7_S7_S7_S7_S6_S4_S4_,@function
_ZN9rocsolver6v33100L22stebz_splitting_kernelIfPfEEv15rocblas_erange_iT_S4_iiT0_iiS5_iiPiPS4_lS6_lS6_S7_S7_S7_S7_S6_S4_S4_: ; @_ZN9rocsolver6v33100L22stebz_splitting_kernelIfPfEEv15rocblas_erange_iT_S4_iiT0_iiS5_iiPiPS4_lS6_lS6_S7_S7_S7_S7_S6_S4_S4_
; %bb.0:
	s_load_dwordx4 s[24:27], s[0:1], 0x0
	s_load_dwordx2 s[36:37], s[0:1], 0x10
	s_mov_b32 s34, s3
	v_mov_b32_e32 v4, 0
	v_lshlrev_b32_e32 v2, 2, v0
	s_waitcnt lgkmcnt(0)
	s_add_i32 s33, s25, -1
	s_ashr_i32 s2, s33, 31
	s_lshr_b32 s2, s2, 24
	s_add_i32 s2, s33, s2
	s_ashr_i32 s3, s2, 8
	s_and_b32 s2, s2, 0xffffff00
	s_sub_i32 s2, s33, s2
	v_mov_b32_e32 v1, s3
	v_cmp_gt_i32_e32 vcc, s2, v0
	v_cmp_eq_u32_e64 s[2:3], 0, v0
	v_mov_b32_e32 v8, 0
	v_addc_co_u32_e32 v1, vcc, 0, v1, vcc
	v_cmp_ne_u32_e32 vcc, 0, v0
	ds_write_b32 v2, v1
	s_waitcnt lgkmcnt(0)
	s_barrier
	s_and_saveexec_b64 s[6:7], vcc
	s_cbranch_execz .LBB4_16
; %bb.1:
	v_cmp_lt_u32_e64 s[4:5], 3, v0
	s_mov_b64 s[10:11], -1
	v_mov_b32_e32 v8, 0
	v_mov_b32_e32 v3, 0
	s_and_saveexec_b64 s[8:9], s[4:5]
	s_cbranch_execz .LBB4_11
; %bb.2:
	v_add_u32_e32 v5, -4, v0
	v_mov_b32_e32 v8, 0
	v_lshrrev_b32_e32 v3, 2, v5
	v_mov_b32_e32 v9, v8
	v_add_u32_e32 v3, 1, v3
	v_cmp_lt_u32_e64 s[4:5], 27, v5
	s_mov_b32 s14, 0
	v_mov_b64_e32 v[6:7], v[8:9]
	v_mov_b32_e32 v10, v8
	s_and_saveexec_b64 s[10:11], s[4:5]
	s_cbranch_execz .LBB4_6
; %bb.3:
	v_and_b32_e32 v5, 0x7ffffff8, v3
	s_mov_b32 s15, 0
	s_mov_b64 s[12:13], 0
	v_mov_b32_e32 v6, 0
	v_mov_b32_e32 v7, 0
	;; [unrolled: 1-line block ×4, first 2 shown]
.LBB4_4:                                ; =>This Inner Loop Header: Depth=1
	v_mov_b32_e32 v10, s14
	ds_read_b128 v[12:15], v10
	ds_read_b128 v[16:19], v10 offset:16
	ds_read_b128 v[20:23], v10 offset:32
	;; [unrolled: 1-line block ×7, first 2 shown]
	s_waitcnt lgkmcnt(7)
	v_add_u32_e32 v6, v12, v6
	v_add_u32_e32 v7, v13, v7
	v_add_u32_e32 v8, v14, v8
	v_add_u32_e32 v9, v15, v9
	s_waitcnt lgkmcnt(6)
	v_add_u32_e32 v7, v17, v7
	v_add_u32_e32 v6, v16, v6
	v_add_u32_e32 v9, v19, v9
	v_add_u32_e32 v8, v18, v8
	;; [unrolled: 5-line block ×5, first 2 shown]
	v_add_u32_e32 v5, -8, v5
	s_waitcnt lgkmcnt(2)
	v_add_u32_e32 v7, v33, v7
	v_add_u32_e32 v6, v32, v6
	;; [unrolled: 1-line block ×4, first 2 shown]
	s_add_i32 s15, s15, 32
	s_addk_i32 s14, 0x80
	v_cmp_eq_u32_e64 s[4:5], 0, v5
	s_waitcnt lgkmcnt(1)
	v_add_u32_e32 v6, v36, v6
	v_add_u32_e32 v7, v37, v7
	;; [unrolled: 1-line block ×4, first 2 shown]
	v_mov_b32_e32 v10, s15
	s_or_b64 s[12:13], s[4:5], s[12:13]
	s_waitcnt lgkmcnt(0)
	v_add_u32_e32 v7, v41, v7
	v_add_u32_e32 v6, v40, v6
	;; [unrolled: 1-line block ×4, first 2 shown]
	s_andn2_b64 exec, exec, s[12:13]
	s_cbranch_execnz .LBB4_4
; %bb.5:
	s_or_b64 exec, exec, s[12:13]
.LBB4_6:
	s_or_b64 exec, exec, s[10:11]
	v_and_b32_e32 v3, 7, v3
	v_cmp_ne_u32_e64 s[4:5], 0, v3
	s_and_saveexec_b64 s[10:11], s[4:5]
	s_cbranch_execz .LBB4_10
; %bb.7:
	v_lshlrev_b32_e32 v5, 2, v10
	s_mov_b64 s[12:13], 0
.LBB4_8:                                ; =>This Inner Loop Header: Depth=1
	ds_read_b128 v[10:13], v5
	v_add_u32_e32 v3, -1, v3
	v_cmp_eq_u32_e64 s[4:5], 0, v3
	v_add_u32_e32 v5, 16, v5
	s_or_b64 s[12:13], s[4:5], s[12:13]
	s_waitcnt lgkmcnt(0)
	v_add_u32_e32 v7, v11, v7
	v_add_u32_e32 v6, v10, v6
	;; [unrolled: 1-line block ×4, first 2 shown]
	s_andn2_b64 exec, exec, s[12:13]
	s_cbranch_execnz .LBB4_8
; %bb.9:
	s_or_b64 exec, exec, s[12:13]
.LBB4_10:
	s_or_b64 exec, exec, s[10:11]
	v_and_b32_e32 v3, 0xfc, v0
	v_add_u32_e32 v5, v9, v7
	v_cmp_ne_u32_e64 s[4:5], v0, v3
	v_add3_u32 v8, v8, v6, v5
	s_orn2_b64 s[10:11], s[4:5], exec
.LBB4_11:
	s_or_b64 exec, exec, s[8:9]
	s_and_saveexec_b64 s[8:9], s[10:11]
	s_cbranch_execz .LBB4_15
; %bb.12:
	v_sub_u32_e32 v5, v0, v3
	v_lshlrev_b32_e32 v3, 2, v3
	s_mov_b64 s[10:11], 0
.LBB4_13:                               ; =>This Inner Loop Header: Depth=1
	ds_read_b32 v6, v3
	v_add_u32_e32 v5, -1, v5
	v_cmp_eq_u32_e64 s[4:5], 0, v5
	v_add_u32_e32 v3, 4, v3
	s_or_b64 s[10:11], s[4:5], s[10:11]
	s_waitcnt lgkmcnt(0)
	v_add_u32_e32 v8, v6, v8
	s_andn2_b64 exec, exec, s[10:11]
	s_cbranch_execnz .LBB4_13
; %bb.14:
	s_or_b64 exec, exec, s[10:11]
.LBB4_15:
	s_or_b64 exec, exec, s[8:9]
.LBB4_16:
	s_or_b64 exec, exec, s[6:7]
	s_load_dwordx4 s[28:31], s[0:1], 0x18
	s_load_dwordx16 s[8:23], s[0:1], 0x38
	s_load_dwordx2 s[38:39], s[0:1], 0x90
	s_mul_i32 s4, s25, s34
	s_ashr_i32 s5, s4, 31
	s_waitcnt lgkmcnt(0)
	s_ashr_i32 s41, s30, 31
	s_mov_b32 s40, s30
	s_mul_i32 s30, s33, s34
	s_ashr_i32 s35, s34, 31
	s_mul_hi_i32 s43, s31, s34
	s_mul_i32 s42, s31, s34
	s_ashr_i32 s31, s30, 31
	s_lshl_b64 s[4:5], s[4:5], 2
	s_add_u32 s4, s18, s4
	s_mul_hi_u32 s6, s12, s34
	s_mul_i32 s7, s12, s35
	s_addc_u32 s5, s19, s5
	s_add_i32 s6, s6, s7
	s_mul_i32 s7, s13, s34
	v_ashrrev_i32_e32 v9, 31, v8
	s_add_i32 s19, s6, s7
	s_mul_i32 s18, s12, s34
	v_lshl_add_u64 v[6:7], v[8:9], 2, s[4:5]
	v_cmp_lt_i32_e64 s[4:5], 0, v1
	s_and_saveexec_b64 s[6:7], s[4:5]
	s_cbranch_execz .LBB4_22
; %bb.17:
	s_load_dwordx4 s[44:47], s[0:1], 0x28
	v_lshlrev_b64 v[4:5], 2, v[8:9]
	s_waitcnt lgkmcnt(0)
	s_ashr_i32 s5, s46, 31
	s_mov_b32 s4, s46
	s_mul_hi_i32 s13, s34, s47
	s_mul_i32 s12, s34, s47
	s_lshl_b64 s[12:13], s[12:13], 2
	s_lshl_b64 s[4:5], s[4:5], 2
	s_add_u32 s4, s12, s4
	s_addc_u32 s5, s13, s5
	s_add_u32 s4, s44, s4
	s_addc_u32 s5, s45, s5
	v_lshl_add_u64 v[10:11], s[4:5], 0, v[4:5]
	s_lshl_b64 s[4:5], s[42:43], 2
	s_lshl_b64 s[12:13], s[40:41], 2
	s_add_u32 s4, s4, s12
	s_addc_u32 s5, s5, s13
	s_add_u32 s4, s28, s4
	s_addc_u32 s5, s29, s5
	v_lshl_add_u64 v[12:13], s[4:5], 0, v[4:5]
	s_lshl_b64 s[4:5], s[30:31], 2
	s_add_u32 s4, s22, s4
	s_addc_u32 s5, s23, s5
	v_lshl_add_u64 v[14:15], s[4:5], 0, v[4:5]
	s_lshl_b64 s[4:5], s[18:19], 2
	s_add_u32 s4, s10, s4
	s_addc_u32 s5, s11, s5
	v_lshl_add_u64 v[16:17], s[4:5], 0, v[4:5]
	v_mov_b32_e32 v4, 0
	s_mov_b64 s[12:13], 0
	s_branch .LBB4_19
.LBB4_18:                               ;   in Loop: Header=BB4_19 Depth=1
	s_or_b64 exec, exec, s[44:45]
	v_add_u32_e32 v1, -1, v1
	v_cmp_eq_u32_e64 s[4:5], 0, v1
	global_store_dword v[14:15], v21, off
	global_store_dword v[16:17], v19, off
	v_add_u32_e32 v8, 1, v8
	v_lshl_add_u64 v[10:11], v[10:11], 0, 4
	v_lshl_add_u64 v[12:13], v[12:13], 0, 4
	;; [unrolled: 1-line block ×3, first 2 shown]
	s_or_b64 s[12:13], s[4:5], s[12:13]
	v_lshl_add_u64 v[16:17], v[16:17], 0, 4
	s_andn2_b64 exec, exec, s[12:13]
	s_cbranch_execz .LBB4_21
.LBB4_19:                               ; =>This Inner Loop Header: Depth=1
	global_load_dwordx2 v[20:21], v[12:13], off
	global_load_dword v19, v[10:11], off
	v_mov_b32_e32 v18, s38
	s_waitcnt vmcnt(1)
	v_mul_f32_e32 v3, v20, v21
	v_mul_f32_e64 v20, s38, |v3|
	s_waitcnt vmcnt(0)
	v_mov_b32_e32 v21, v19
	v_pk_mul_f32 v[20:21], v[18:19], v[20:21]
	s_nop 0
	v_add_f32_e32 v3, s39, v20
	v_cmp_gt_f32_e64 s[4:5], v3, v21
	s_and_saveexec_b64 s[44:45], s[4:5]
	s_cbranch_execz .LBB4_18
; %bb.20:                               ;   in Loop: Header=BB4_19 Depth=1
	v_ashrrev_i32_e32 v5, 31, v4
	v_add_u32_e32 v3, 1, v4
	v_lshl_add_u64 v[4:5], v[4:5], 2, v[6:7]
	global_store_dword v[4:5], v8, off
	v_mov_b32_e32 v21, 0
	v_mov_b32_e32 v19, 0
	;; [unrolled: 1-line block ×3, first 2 shown]
	s_branch .LBB4_18
.LBB4_21:
	s_or_b64 exec, exec, s[12:13]
.LBB4_22:
	s_or_b64 exec, exec, s[6:7]
	v_mov_b32_e32 v8, 0
	ds_write_b32 v2, v4
	s_waitcnt lgkmcnt(0)
	s_barrier
	s_and_saveexec_b64 s[4:5], vcc
	s_cbranch_execz .LBB4_38
; %bb.23:
	v_cmp_lt_u32_e32 vcc, 3, v0
	s_mov_b64 s[12:13], -1
	v_mov_b32_e32 v8, 0
	v_mov_b32_e32 v1, 0
	s_and_saveexec_b64 s[6:7], vcc
	s_cbranch_execz .LBB4_33
; %bb.24:
	v_add_u32_e32 v3, -4, v0
	v_mov_b32_e32 v10, 0
	v_lshrrev_b32_e32 v1, 2, v3
	v_mov_b32_e32 v11, v10
	v_add_u32_e32 v1, 1, v1
	v_cmp_lt_u32_e32 vcc, 27, v3
	s_mov_b32 s46, 0
	v_mov_b64_e32 v[8:9], v[10:11]
	v_mov_b32_e32 v5, v10
	s_and_saveexec_b64 s[12:13], vcc
	s_cbranch_execz .LBB4_28
; %bb.25:
	v_and_b32_e32 v3, 0x7ffffff8, v1
	s_mov_b32 s47, 0
	s_mov_b64 s[44:45], 0
	v_mov_b32_e32 v8, 0
	v_mov_b32_e32 v9, 0
	;; [unrolled: 1-line block ×4, first 2 shown]
.LBB4_26:                               ; =>This Inner Loop Header: Depth=1
	v_mov_b32_e32 v5, s46
	ds_read_b128 v[12:15], v5
	ds_read_b128 v[16:19], v5 offset:16
	ds_read_b128 v[20:23], v5 offset:32
	;; [unrolled: 1-line block ×7, first 2 shown]
	s_waitcnt lgkmcnt(7)
	v_add_u32_e32 v8, v12, v8
	v_add_u32_e32 v9, v13, v9
	v_add_u32_e32 v10, v14, v10
	v_add_u32_e32 v11, v15, v11
	s_waitcnt lgkmcnt(6)
	v_add_u32_e32 v9, v17, v9
	v_add_u32_e32 v8, v16, v8
	v_add_u32_e32 v11, v19, v11
	v_add_u32_e32 v10, v18, v10
	;; [unrolled: 5-line block ×5, first 2 shown]
	v_add_u32_e32 v3, -8, v3
	s_waitcnt lgkmcnt(2)
	v_add_u32_e32 v9, v33, v9
	v_add_u32_e32 v8, v32, v8
	;; [unrolled: 1-line block ×4, first 2 shown]
	s_add_i32 s47, s47, 32
	s_addk_i32 s46, 0x80
	v_cmp_eq_u32_e32 vcc, 0, v3
	s_waitcnt lgkmcnt(1)
	v_add_u32_e32 v8, v36, v8
	v_add_u32_e32 v9, v37, v9
	;; [unrolled: 1-line block ×4, first 2 shown]
	v_mov_b32_e32 v5, s47
	s_or_b64 s[44:45], vcc, s[44:45]
	s_waitcnt lgkmcnt(0)
	v_add_u32_e32 v9, v41, v9
	v_add_u32_e32 v8, v40, v8
	v_add_u32_e32 v11, v43, v11
	v_add_u32_e32 v10, v42, v10
	s_andn2_b64 exec, exec, s[44:45]
	s_cbranch_execnz .LBB4_26
; %bb.27:
	s_or_b64 exec, exec, s[44:45]
.LBB4_28:
	s_or_b64 exec, exec, s[12:13]
	v_and_b32_e32 v1, 7, v1
	v_cmp_ne_u32_e32 vcc, 0, v1
	s_and_saveexec_b64 s[12:13], vcc
	s_cbranch_execz .LBB4_32
; %bb.29:
	v_lshlrev_b32_e32 v3, 2, v5
	s_mov_b64 s[44:45], 0
.LBB4_30:                               ; =>This Inner Loop Header: Depth=1
	ds_read_b128 v[12:15], v3
	v_add_u32_e32 v1, -1, v1
	v_cmp_eq_u32_e32 vcc, 0, v1
	v_add_u32_e32 v3, 16, v3
	s_or_b64 s[44:45], vcc, s[44:45]
	s_waitcnt lgkmcnt(0)
	v_add_u32_e32 v9, v13, v9
	v_add_u32_e32 v8, v12, v8
	;; [unrolled: 1-line block ×4, first 2 shown]
	s_andn2_b64 exec, exec, s[44:45]
	s_cbranch_execnz .LBB4_30
; %bb.31:
	s_or_b64 exec, exec, s[44:45]
.LBB4_32:
	s_or_b64 exec, exec, s[12:13]
	v_and_b32_e32 v1, 0xfc, v0
	v_add_u32_e32 v3, v11, v9
	v_cmp_ne_u32_e32 vcc, v0, v1
	v_add3_u32 v8, v10, v8, v3
	s_orn2_b64 s[12:13], vcc, exec
.LBB4_33:
	s_or_b64 exec, exec, s[6:7]
	s_and_saveexec_b64 s[6:7], s[12:13]
	s_cbranch_execz .LBB4_37
; %bb.34:
	v_sub_u32_e32 v3, v0, v1
	v_lshlrev_b32_e32 v1, 2, v1
	s_mov_b64 s[12:13], 0
.LBB4_35:                               ; =>This Inner Loop Header: Depth=1
	ds_read_b32 v5, v1
	v_add_u32_e32 v3, -1, v3
	v_cmp_eq_u32_e32 vcc, 0, v3
	v_add_u32_e32 v1, 4, v1
	s_or_b64 s[12:13], vcc, s[12:13]
	s_waitcnt lgkmcnt(0)
	v_add_u32_e32 v8, v5, v8
	s_andn2_b64 exec, exec, s[12:13]
	s_cbranch_execnz .LBB4_35
; %bb.36:
	s_or_b64 exec, exec, s[12:13]
.LBB4_37:
	s_or_b64 exec, exec, s[6:7]
.LBB4_38:
	s_or_b64 exec, exec, s[4:5]
	s_mul_i32 s4, s16, s35
	s_mul_hi_u32 s5, s16, s34
	s_add_i32 s4, s5, s4
	s_mul_i32 s5, s17, s34
	s_add_i32 s7, s4, s5
	s_mul_i32 s6, s16, s34
	v_cmp_lt_i32_e32 vcc, 0, v4
	s_and_saveexec_b64 s[4:5], vcc
	s_cbranch_execz .LBB4_41
; %bb.39:
	s_lshl_b64 s[12:13], s[6:7], 2
	s_add_u32 s12, s14, s12
	v_ashrrev_i32_e32 v9, 31, v8
	s_addc_u32 s13, s15, s13
	v_lshl_add_u64 v[10:11], v[8:9], 2, s[12:13]
	s_mov_b64 s[12:13], 0
	v_mov_b32_e32 v1, v4
.LBB4_40:                               ; =>This Inner Loop Header: Depth=1
	global_load_dword v3, v[6:7], off
	v_add_u32_e32 v1, -1, v1
	v_cmp_eq_u32_e32 vcc, 0, v1
	v_lshl_add_u64 v[6:7], v[6:7], 0, 4
	s_or_b64 s[12:13], vcc, s[12:13]
	s_waitcnt vmcnt(0)
	v_add_u32_e32 v3, 1, v3
	global_store_dword v[10:11], v3, off
	v_lshl_add_u64 v[10:11], v[10:11], 0, 4
	s_andn2_b64 exec, exec, s[12:13]
	s_cbranch_execnz .LBB4_40
.LBB4_41:
	s_or_b64 exec, exec, s[4:5]
	s_movk_i32 s4, 0xff
	v_cmp_eq_u32_e64 s[4:5], s4, v0
	s_and_saveexec_b64 s[12:13], s[4:5]
	s_cbranch_execz .LBB4_43
; %bb.42:
	s_lshl_b64 s[16:17], s[34:35], 2
	s_add_u32 s8, s8, s16
	s_addc_u32 s9, s9, s17
	s_lshl_b64 s[6:7], s[6:7], 2
	s_add_u32 s6, s14, s6
	v_add_u32_e32 v4, v8, v4
	s_addc_u32 s7, s15, s7
	v_ashrrev_i32_e32 v5, 31, v4
	v_lshl_add_u64 v[6:7], v[4:5], 2, s[6:7]
	v_add_u32_e32 v3, 1, v4
	v_mov_b32_e32 v4, s25
	v_mov_b32_e32 v1, 0
	global_store_dword v[6:7], v4, off
	global_store_dword v1, v3, s[8:9]
.LBB4_43:
	s_or_b64 exec, exec, s[12:13]
	v_cmp_gt_i32_e32 vcc, s33, v0
	v_mov_b32_e32 v3, 0
	v_bfrev_b32_e32 v1, -2
	s_barrier
	s_and_saveexec_b64 s[8:9], vcc
	s_cbranch_execz .LBB4_47
; %bb.44:
	s_lshl_b64 s[6:7], s[30:31], 2
	s_add_u32 s6, s22, s6
	v_mov_b32_e32 v3, 0
	s_addc_u32 s7, s23, s7
	v_lshl_add_u64 v[4:5], s[6:7], 0, v[2:3]
	v_bfrev_b32_e32 v1, -2
	s_mov_b64 s[12:13], 0
	s_brev_b32 s16, -2
	s_mov_b64 s[14:15], 0x400
	v_mov_b32_e32 v6, v0
.LBB4_45:                               ; =>This Inner Loop Header: Depth=1
	global_load_dword v7, v[4:5], off
	v_cmp_eq_u32_e32 vcc, s16, v1
	v_add_u32_e32 v8, 1, v6
	v_add_u32_e32 v6, 0x100, v6
	v_cmp_le_i32_e64 s[6:7], s33, v6
	v_lshl_add_u64 v[4:5], v[4:5], 0, s[14:15]
	s_waitcnt vmcnt(0)
	v_cmp_lt_f32_e64 s[44:45], v3, |v7|
	s_or_b64 vcc, s[44:45], vcc
	v_cndmask_b32_e64 v3, v3, |v7|, vcc
	s_or_b64 s[12:13], s[6:7], s[12:13]
	v_cndmask_b32_e32 v1, v1, v8, vcc
	s_andn2_b64 exec, exec, s[12:13]
	s_cbranch_execnz .LBB4_45
; %bb.46:
	s_or_b64 exec, exec, s[12:13]
.LBB4_47:
	s_or_b64 exec, exec, s[8:9]
	s_cmp_lt_i32 s25, 3
	ds_write_b32 v2, v3 offset:1024
	ds_write_b32 v2, v1
	s_waitcnt lgkmcnt(0)
	s_barrier
	s_cbranch_scc1 .LBB4_82
; %bb.48:
	s_movk_i32 s6, 0x80
	v_or_b32_e32 v4, 0x400, v2
	v_cmp_gt_u32_e32 vcc, s6, v0
	s_and_saveexec_b64 s[8:9], vcc
	s_cbranch_execz .LBB4_54
; %bb.49:
	ds_read_b32 v5, v4 offset:512
	ds_read_b32 v6, v2 offset:512
	s_waitcnt lgkmcnt(1)
	v_cmp_lt_f32_e64 s[12:13], v3, v5
	v_cmp_nlt_f32_e32 vcc, v3, v5
	s_and_saveexec_b64 s[14:15], vcc
	s_cbranch_execz .LBB4_51
; %bb.50:
	v_cmp_eq_f32_e32 vcc, v3, v5
	s_waitcnt lgkmcnt(0)
	v_cmp_gt_i32_e64 s[6:7], v1, v6
	s_and_b64 s[6:7], vcc, s[6:7]
	s_andn2_b64 s[12:13], s[12:13], exec
	s_and_b64 s[6:7], s[6:7], exec
	s_or_b64 s[12:13], s[12:13], s[6:7]
.LBB4_51:
	s_or_b64 exec, exec, s[14:15]
	s_and_saveexec_b64 s[6:7], s[12:13]
	s_cbranch_execz .LBB4_53
; %bb.52:
	s_waitcnt lgkmcnt(0)
	v_mov_b32_e32 v1, v6
	v_mov_b32_e32 v3, v5
	ds_write_b32 v4, v5
	ds_write_b32 v2, v6
.LBB4_53:
	s_or_b64 exec, exec, s[6:7]
.LBB4_54:
	s_or_b64 exec, exec, s[8:9]
	v_cmp_gt_u32_e32 vcc, 64, v0
	s_waitcnt lgkmcnt(0)
	s_barrier
	s_and_saveexec_b64 s[12:13], vcc
	s_cbranch_execz .LBB4_81
; %bb.55:
	ds_read_b32 v5, v4 offset:256
	ds_read_b32 v6, v2 offset:256
	s_waitcnt lgkmcnt(1)
	v_cmp_lt_f32_e64 s[8:9], v3, v5
	v_cmp_nlt_f32_e32 vcc, v3, v5
	s_and_saveexec_b64 s[14:15], vcc
	s_cbranch_execz .LBB4_57
; %bb.56:
	v_cmp_eq_f32_e32 vcc, v3, v5
	s_waitcnt lgkmcnt(0)
	v_cmp_gt_i32_e64 s[6:7], v1, v6
	s_and_b64 s[6:7], vcc, s[6:7]
	s_andn2_b64 s[8:9], s[8:9], exec
	s_and_b64 s[6:7], s[6:7], exec
	s_or_b64 s[8:9], s[8:9], s[6:7]
.LBB4_57:
	s_or_b64 exec, exec, s[14:15]
	s_and_saveexec_b64 s[6:7], s[8:9]
	s_cbranch_execz .LBB4_59
; %bb.58:
	v_mov_b32_e32 v3, v5
	s_waitcnt lgkmcnt(0)
	v_mov_b32_e32 v1, v6
	ds_write_b32 v4, v5
	ds_write_b32 v2, v6
.LBB4_59:
	s_or_b64 exec, exec, s[6:7]
	ds_read_b32 v5, v4 offset:128
	s_waitcnt lgkmcnt(1)
	ds_read_b32 v6, v2 offset:128
	s_waitcnt lgkmcnt(1)
	v_cmp_lt_f32_e64 s[8:9], v3, v5
	v_cmp_nlt_f32_e32 vcc, v3, v5
	s_and_saveexec_b64 s[14:15], vcc
	s_cbranch_execz .LBB4_61
; %bb.60:
	v_cmp_eq_f32_e32 vcc, v3, v5
	s_waitcnt lgkmcnt(0)
	v_cmp_gt_i32_e64 s[6:7], v1, v6
	s_and_b64 s[6:7], vcc, s[6:7]
	s_andn2_b64 s[8:9], s[8:9], exec
	s_and_b64 s[6:7], s[6:7], exec
	s_or_b64 s[8:9], s[8:9], s[6:7]
.LBB4_61:
	s_or_b64 exec, exec, s[14:15]
	s_and_saveexec_b64 s[6:7], s[8:9]
	s_cbranch_execz .LBB4_63
; %bb.62:
	v_mov_b32_e32 v3, v5
	s_waitcnt lgkmcnt(0)
	v_mov_b32_e32 v1, v6
	ds_write_b32 v4, v5
	ds_write_b32 v2, v6
.LBB4_63:
	s_or_b64 exec, exec, s[6:7]
	ds_read_b32 v5, v4 offset:64
	s_waitcnt lgkmcnt(1)
	ds_read_b32 v6, v2 offset:64
	s_waitcnt lgkmcnt(1)
	v_cmp_lt_f32_e64 s[8:9], v3, v5
	v_cmp_nlt_f32_e32 vcc, v3, v5
	s_and_saveexec_b64 s[14:15], vcc
	s_cbranch_execz .LBB4_65
; %bb.64:
	v_cmp_eq_f32_e32 vcc, v3, v5
	s_waitcnt lgkmcnt(0)
	v_cmp_gt_i32_e64 s[6:7], v1, v6
	s_and_b64 s[6:7], vcc, s[6:7]
	s_andn2_b64 s[8:9], s[8:9], exec
	s_and_b64 s[6:7], s[6:7], exec
	s_or_b64 s[8:9], s[8:9], s[6:7]
.LBB4_65:
	s_or_b64 exec, exec, s[14:15]
	s_and_saveexec_b64 s[6:7], s[8:9]
	s_cbranch_execz .LBB4_67
; %bb.66:
	v_mov_b32_e32 v3, v5
	s_waitcnt lgkmcnt(0)
	v_mov_b32_e32 v1, v6
	ds_write_b32 v4, v5
	ds_write_b32 v2, v6
.LBB4_67:
	s_or_b64 exec, exec, s[6:7]
	ds_read_b32 v5, v4 offset:32
	s_waitcnt lgkmcnt(1)
	ds_read_b32 v6, v2 offset:32
	s_waitcnt lgkmcnt(1)
	v_cmp_lt_f32_e64 s[8:9], v3, v5
	v_cmp_nlt_f32_e32 vcc, v3, v5
	s_and_saveexec_b64 s[14:15], vcc
	s_cbranch_execz .LBB4_69
; %bb.68:
	v_cmp_eq_f32_e32 vcc, v3, v5
	s_waitcnt lgkmcnt(0)
	v_cmp_gt_i32_e64 s[6:7], v1, v6
	s_and_b64 s[6:7], vcc, s[6:7]
	s_andn2_b64 s[8:9], s[8:9], exec
	s_and_b64 s[6:7], s[6:7], exec
	s_or_b64 s[8:9], s[8:9], s[6:7]
.LBB4_69:
	s_or_b64 exec, exec, s[14:15]
	s_and_saveexec_b64 s[6:7], s[8:9]
	s_cbranch_execz .LBB4_71
; %bb.70:
	v_mov_b32_e32 v3, v5
	s_waitcnt lgkmcnt(0)
	v_mov_b32_e32 v1, v6
	ds_write_b32 v4, v5
	ds_write_b32 v2, v6
.LBB4_71:
	s_or_b64 exec, exec, s[6:7]
	ds_read_b32 v5, v4 offset:16
	s_waitcnt lgkmcnt(1)
	ds_read_b32 v6, v2 offset:16
	s_waitcnt lgkmcnt(1)
	v_cmp_lt_f32_e64 s[8:9], v3, v5
	v_cmp_nlt_f32_e32 vcc, v3, v5
	s_and_saveexec_b64 s[14:15], vcc
	s_cbranch_execz .LBB4_73
; %bb.72:
	v_cmp_eq_f32_e32 vcc, v3, v5
	s_waitcnt lgkmcnt(0)
	v_cmp_gt_i32_e64 s[6:7], v1, v6
	s_and_b64 s[6:7], vcc, s[6:7]
	s_andn2_b64 s[8:9], s[8:9], exec
	s_and_b64 s[6:7], s[6:7], exec
	s_or_b64 s[8:9], s[8:9], s[6:7]
.LBB4_73:
	s_or_b64 exec, exec, s[14:15]
	s_and_saveexec_b64 s[6:7], s[8:9]
	s_cbranch_execz .LBB4_75
; %bb.74:
	v_mov_b32_e32 v3, v5
	s_waitcnt lgkmcnt(0)
	v_mov_b32_e32 v1, v6
	ds_write_b32 v4, v5
	ds_write_b32 v2, v6
.LBB4_75:
	s_or_b64 exec, exec, s[6:7]
	ds_read_b32 v5, v4 offset:8
	s_waitcnt lgkmcnt(1)
	ds_read_b32 v6, v2 offset:8
	s_waitcnt lgkmcnt(1)
	v_cmp_lt_f32_e64 s[8:9], v3, v5
	v_cmp_nlt_f32_e32 vcc, v3, v5
	s_and_saveexec_b64 s[14:15], vcc
	s_cbranch_execz .LBB4_77
; %bb.76:
	v_cmp_eq_f32_e32 vcc, v3, v5
	s_waitcnt lgkmcnt(0)
	v_cmp_gt_i32_e64 s[6:7], v1, v6
	s_and_b64 s[6:7], vcc, s[6:7]
	s_andn2_b64 s[8:9], s[8:9], exec
	s_and_b64 s[6:7], s[6:7], exec
	s_or_b64 s[8:9], s[8:9], s[6:7]
.LBB4_77:
	s_or_b64 exec, exec, s[14:15]
	s_and_saveexec_b64 s[6:7], s[8:9]
	s_cbranch_execz .LBB4_79
; %bb.78:
	v_mov_b32_e32 v3, v5
	s_waitcnt lgkmcnt(0)
	v_mov_b32_e32 v1, v6
	ds_write_b32 v4, v5
	ds_write_b32 v2, v6
.LBB4_79:
	s_or_b64 exec, exec, s[6:7]
	ds_read_b32 v5, v4 offset:4
	s_waitcnt lgkmcnt(1)
	ds_read_b32 v6, v2 offset:4
	s_waitcnt lgkmcnt(1)
	v_cmp_eq_f32_e64 s[6:7], v3, v5
	s_waitcnt lgkmcnt(0)
	v_cmp_gt_i32_e64 s[8:9], v1, v6
	v_cmp_lt_f32_e32 vcc, v3, v5
	s_and_b64 s[6:7], s[6:7], s[8:9]
	s_or_b64 s[6:7], vcc, s[6:7]
	s_and_b64 exec, exec, s[6:7]
	s_cbranch_execz .LBB4_81
; %bb.80:
	ds_write_b32 v4, v5
	ds_write_b32 v2, v6
.LBB4_81:
	s_or_b64 exec, exec, s[12:13]
.LBB4_82:
	v_mov_b32_e32 v1, 0
	s_waitcnt lgkmcnt(0)
	s_barrier
	ds_read_b32 v1, v1 offset:1024
	s_load_dwordx4 s[12:15], s[0:1], 0x78
	s_load_dwordx2 s[8:9], s[0:1], 0x88
	v_mov_b32_e32 v2, s39
	s_mov_b64 s[0:1], -1
	s_cmpk_lg_i32 s24, 0xe9
	s_waitcnt lgkmcnt(0)
	v_mul_f32_e32 v1, s39, v1
	v_cmp_gt_f32_e32 vcc, s39, v1
	s_nop 1
	v_cndmask_b32_e32 v6, v1, v2, vcc
	v_mov_b32_e32 v2, s27
	v_mov_b32_e32 v1, s26
	s_cbranch_scc1 .LBB4_131
; %bb.83:
	s_lshl_b64 s[26:27], s[42:43], 2
	s_add_u32 s0, s28, s26
	s_addc_u32 s1, s29, s27
	s_lshl_b64 s[40:41], s[40:41], 2
	s_add_u32 s42, s0, s40
	s_addc_u32 s43, s1, s41
	;; [unrolled: 3-line block ×4, first 2 shown]
	s_lshl_b32 s10, s25, 1
	s_mul_i32 s0, s10, s34
	s_ashr_i32 s1, s0, 31
	s_lshl_b64 s[16:17], s[0:1], 2
	s_add_u32 s6, s14, s16
	s_addc_u32 s7, s15, s17
	s_add_u32 s18, s8, s16
	s_addc_u32 s19, s9, s17
	s_and_saveexec_b64 s[44:45], s[2:3]
	s_cbranch_execz .LBB4_91
; %bb.84:
	v_mov_b32_e32 v5, 0
	global_load_dword v1, v5, s[42:43]
	global_load_dword v3, v5, s[30:31]
	s_cmp_gt_i32 s25, 1
	s_cselect_b64 s[46:47], -1, 0
	s_cmp_lt_i32 s25, 2
	s_waitcnt vmcnt(0)
	v_sub_f32_e64 v2, v1, |v3|
	v_sub_f32_e32 v7, v1, v2
	v_cmp_le_f32_e32 vcc, v7, v6
	s_nop 1
	v_cndmask_b32_e64 v4, 0, 1, vcc
	s_cbranch_scc1 .LBB4_87
; %bb.85:
	v_cmp_gt_f32_e64 s[0:1], v7, -v6
	s_and_b64 s[0:1], vcc, s[0:1]
	s_mov_b64 s[50:51], s[22:23]
	v_cndmask_b32_e64 v7, v7, -v6, s[0:1]
	s_add_u32 s0, s26, s40
	s_addc_u32 s1, s27, s41
	s_add_u32 s0, s28, s0
	s_addc_u32 s1, s29, s1
	;; [unrolled: 2-line block ×3, first 2 shown]
	s_mov_b32 s11, s33
.LBB4_86:                               ; =>This Inner Loop Header: Depth=1
	global_load_dword v8, v5, s[48:49]
	global_load_dword v9, v5, s[50:51]
	s_add_i32 s11, s11, -1
	s_waitcnt vmcnt(1)
	v_sub_f32_e32 v8, v8, v2
	s_waitcnt vmcnt(0)
	v_div_scale_f32 v10, s[0:1], v7, v7, v9
	v_rcp_f32_e32 v12, v10
	v_div_scale_f32 v11, vcc, v9, v7, v9
	v_fma_f32 v13, -v10, v12, 1.0
	v_fmac_f32_e32 v12, v13, v12
	v_mul_f32_e32 v13, v11, v12
	v_fma_f32 v14, -v10, v13, v11
	v_fmac_f32_e32 v13, v14, v12
	v_fma_f32 v10, -v10, v13, v11
	v_div_fmas_f32 v10, v10, v12, v13
	v_div_fixup_f32 v7, v10, v7, v9
	v_sub_f32_e32 v7, v8, v7
	v_cmp_le_f32_e32 vcc, v7, v6
	v_cmp_gt_f32_e64 s[52:53], v7, -v6
	s_nop 0
	v_addc_co_u32_e64 v4, s[0:1], 0, v4, vcc
	s_and_b64 s[0:1], vcc, s[52:53]
	s_add_u32 s48, s48, 4
	s_addc_u32 s49, s49, 0
	s_add_u32 s50, s50, 4
	s_addc_u32 s51, s51, 0
	s_cmp_lg_u32 s11, 0
	v_cndmask_b32_e64 v7, v7, -v6, s[0:1]
	s_cbranch_scc1 .LBB4_86
.LBB4_87:
	v_and_b32_e32 v3, 0x7fffffff, v3
	v_add_f32_e32 v3, v1, v3
	v_sub_f32_e32 v1, v1, v3
	v_cmp_le_f32_e64 s[0:1], v1, v6
	s_andn2_b64 vcc, exec, s[46:47]
	s_nop 0
	v_cndmask_b32_e64 v5, 0, 1, s[0:1]
	s_cbranch_vccnz .LBB4_90
; %bb.88:
	v_cmp_gt_f32_e64 s[46:47], v1, -v6
	s_and_b64 s[0:1], s[0:1], s[46:47]
	v_cndmask_b32_e64 v7, v1, -v6, s[0:1]
	s_add_u32 s0, s26, s40
	s_addc_u32 s1, s27, s41
	s_add_u32 s0, s28, s0
	s_addc_u32 s1, s29, s1
	;; [unrolled: 2-line block ×3, first 2 shown]
	v_mov_b32_e32 v1, 0
	s_mov_b64 s[48:49], s[22:23]
	s_mov_b32 s11, s33
.LBB4_89:                               ; =>This Inner Loop Header: Depth=1
	global_load_dword v8, v1, s[46:47]
	global_load_dword v9, v1, s[48:49]
	s_add_i32 s11, s11, -1
	s_waitcnt vmcnt(1)
	v_sub_f32_e32 v8, v8, v3
	s_waitcnt vmcnt(0)
	v_div_scale_f32 v10, s[0:1], v7, v7, v9
	v_rcp_f32_e32 v12, v10
	v_div_scale_f32 v11, vcc, v9, v7, v9
	v_fma_f32 v13, -v10, v12, 1.0
	v_fmac_f32_e32 v12, v13, v12
	v_mul_f32_e32 v13, v11, v12
	v_fma_f32 v14, -v10, v13, v11
	v_fmac_f32_e32 v13, v14, v12
	v_fma_f32 v10, -v10, v13, v11
	v_div_fmas_f32 v10, v10, v12, v13
	v_div_fixup_f32 v7, v10, v7, v9
	v_sub_f32_e32 v7, v8, v7
	v_cmp_le_f32_e32 vcc, v7, v6
	v_cmp_gt_f32_e64 s[50:51], v7, -v6
	s_nop 0
	v_addc_co_u32_e64 v5, s[0:1], 0, v5, vcc
	s_and_b64 s[0:1], vcc, s[50:51]
	s_add_u32 s46, s46, 4
	s_addc_u32 s47, s47, 0
	s_add_u32 s48, s48, 4
	s_addc_u32 s49, s49, 0
	s_cmp_lg_u32 s11, 0
	v_cndmask_b32_e64 v7, v7, -v6, s[0:1]
	s_cbranch_scc1 .LBB4_89
.LBB4_90:
	v_mov_b32_e32 v1, 0
	global_store_dwordx2 v1, v[2:3], s[6:7]
	global_store_dwordx2 v1, v[4:5], s[18:19]
.LBB4_91:
	s_or_b64 exec, exec, s[44:45]
	v_add_u32_e32 v0, 1, v0
	v_cmp_gt_i32_e32 vcc, s33, v0
	s_and_saveexec_b64 s[44:45], vcc
	s_cbranch_execz .LBB4_98
; %bb.92:
	s_add_u32 s0, s26, s40
	s_addc_u32 s1, s27, s41
	s_add_u32 s0, s28, s0
	s_addc_u32 s1, s29, s1
	;; [unrolled: 2-line block ×3, first 2 shown]
	s_mov_b64 s[48:49], 0
	v_mov_b32_e32 v1, 0
.LBB4_93:                               ; =>This Loop Header: Depth=1
                                        ;     Child Loop BB4_94 Depth 2
                                        ;     Child Loop BB4_96 Depth 2
	v_lshlrev_b64 v[2:3], 2, v[0:1]
	v_lshl_add_u64 v[8:9], s[30:31], 0, v[2:3]
	v_lshl_add_u64 v[4:5], s[42:43], 0, v[2:3]
	global_load_dwordx2 v[10:11], v[8:9], off offset:-4
	global_load_dword v3, v[4:5], off
	global_load_dword v7, v1, s[42:43]
	s_mov_b32 s11, 1
	s_mov_b64 s[50:51], s[22:23]
	s_mov_b64 s[52:53], s[46:47]
	s_waitcnt vmcnt(2)
	v_add_f32_e64 v5, |v11|, |v10|
	s_waitcnt vmcnt(1)
	v_sub_f32_e32 v4, v3, v5
	s_waitcnt vmcnt(0)
	v_sub_f32_e32 v8, v7, v4
	v_cmp_le_f32_e32 vcc, v8, v6
	v_cmp_gt_f32_e64 s[0:1], v8, -v6
	s_and_b64 s[0:1], vcc, s[0:1]
	v_cndmask_b32_e64 v2, 0, 1, vcc
	v_cndmask_b32_e64 v8, v8, -v6, s[0:1]
.LBB4_94:                               ;   Parent Loop BB4_93 Depth=1
                                        ; =>  This Inner Loop Header: Depth=2
	global_load_dword v9, v1, s[52:53]
	global_load_dword v10, v1, s[50:51]
	s_add_i32 s11, s11, 1
	s_waitcnt vmcnt(1)
	v_sub_f32_e32 v9, v9, v4
	s_waitcnt vmcnt(0)
	v_div_scale_f32 v11, s[0:1], v8, v8, v10
	v_rcp_f32_e32 v13, v11
	v_div_scale_f32 v12, vcc, v10, v8, v10
	v_fma_f32 v14, -v11, v13, 1.0
	v_fmac_f32_e32 v13, v14, v13
	v_mul_f32_e32 v14, v12, v13
	v_fma_f32 v15, -v11, v14, v12
	v_fmac_f32_e32 v14, v15, v13
	v_fma_f32 v11, -v11, v14, v12
	v_div_fmas_f32 v11, v11, v13, v14
	v_div_fixup_f32 v8, v11, v8, v10
	v_sub_f32_e32 v8, v9, v8
	v_cmp_le_f32_e32 vcc, v8, v6
	v_cmp_gt_f32_e64 s[54:55], v8, -v6
	s_nop 0
	v_addc_co_u32_e64 v2, s[0:1], 0, v2, vcc
	s_and_b64 s[0:1], vcc, s[54:55]
	s_add_u32 s52, s52, 4
	s_addc_u32 s53, s53, 0
	s_add_u32 s50, s50, 4
	s_addc_u32 s51, s51, 0
	s_cmp_lg_u32 s25, s11
	v_cndmask_b32_e64 v8, v8, -v6, s[0:1]
	s_cbranch_scc1 .LBB4_94
; %bb.95:                               ;   in Loop: Header=BB4_93 Depth=1
	v_add_f32_e32 v5, v3, v5
	v_sub_f32_e32 v7, v7, v5
	v_cmp_le_f32_e32 vcc, v7, v6
	v_cmp_gt_f32_e64 s[0:1], v7, -v6
	s_and_b64 s[0:1], vcc, s[0:1]
	v_cndmask_b32_e64 v3, 0, 1, vcc
	v_cndmask_b32_e64 v7, v7, -v6, s[0:1]
	s_mov_b64 s[50:51], s[22:23]
	s_mov_b64 s[52:53], s[46:47]
	s_mov_b32 s11, s33
.LBB4_96:                               ;   Parent Loop BB4_93 Depth=1
                                        ; =>  This Inner Loop Header: Depth=2
	global_load_dword v8, v1, s[52:53]
	global_load_dword v9, v1, s[50:51]
	s_add_i32 s11, s11, -1
	s_waitcnt vmcnt(1)
	v_sub_f32_e32 v8, v8, v5
	s_waitcnt vmcnt(0)
	v_div_scale_f32 v10, s[0:1], v7, v7, v9
	v_rcp_f32_e32 v12, v10
	v_div_scale_f32 v11, vcc, v9, v7, v9
	v_fma_f32 v13, -v10, v12, 1.0
	v_fmac_f32_e32 v12, v13, v12
	v_mul_f32_e32 v13, v11, v12
	v_fma_f32 v14, -v10, v13, v11
	v_fmac_f32_e32 v13, v14, v12
	v_fma_f32 v10, -v10, v13, v11
	v_div_fmas_f32 v10, v10, v12, v13
	v_div_fixup_f32 v7, v10, v7, v9
	v_sub_f32_e32 v7, v8, v7
	v_cmp_le_f32_e32 vcc, v7, v6
	v_cmp_gt_f32_e64 s[54:55], v7, -v6
	s_nop 0
	v_addc_co_u32_e64 v3, s[0:1], 0, v3, vcc
	s_and_b64 s[0:1], vcc, s[54:55]
	s_add_u32 s52, s52, 4
	s_addc_u32 s53, s53, 0
	s_add_u32 s50, s50, 4
	s_addc_u32 s51, s51, 0
	s_cmp_lg_u32 s11, 0
	v_cndmask_b32_e64 v7, v7, -v6, s[0:1]
	s_cbranch_scc1 .LBB4_96
; %bb.97:                               ;   in Loop: Header=BB4_93 Depth=1
	v_lshlrev_b32_e32 v8, 1, v0
	v_mov_b32_e32 v9, v1
	v_add_u32_e32 v0, 0x100, v0
	v_lshlrev_b64 v[8:9], 2, v[8:9]
	v_cmp_le_i32_e32 vcc, s33, v0
	v_lshl_add_u64 v[10:11], s[6:7], 0, v[8:9]
	v_lshl_add_u64 v[8:9], s[18:19], 0, v[8:9]
	s_or_b64 s[48:49], vcc, s[48:49]
	global_store_dwordx2 v[10:11], v[4:5], off
	global_store_dwordx2 v[8:9], v[2:3], off
	s_andn2_b64 exec, exec, s[48:49]
	s_cbranch_execnz .LBB4_93
.LBB4_98:
	s_or_b64 exec, exec, s[44:45]
	s_and_saveexec_b64 s[44:45], s[4:5]
	s_cbranch_execz .LBB4_106
; %bb.99:
	s_ashr_i32 s1, s25, 31
	s_mov_b32 s0, s25
	s_lshl_b64 s[0:1], s[0:1], 2
	s_add_u32 s4, s42, s0
	s_addc_u32 s5, s43, s1
	v_mov_b32_e32 v5, 0
	s_add_u32 s0, s30, s0
	s_addc_u32 s1, s31, s1
	global_load_dword v1, v5, s[4:5] offset:-4
	global_load_dword v4, v5, s[0:1] offset:-8
	global_load_dword v3, v5, s[42:43]
	s_cmp_gt_i32 s25, 1
	s_cselect_b64 s[4:5], -1, 0
	s_cmp_lt_i32 s25, 2
	s_waitcnt vmcnt(1)
	v_sub_f32_e64 v0, v1, |v4|
	s_waitcnt vmcnt(0)
	v_sub_f32_e32 v7, v3, v0
	v_cmp_le_f32_e32 vcc, v7, v6
	s_nop 1
	v_cndmask_b32_e64 v2, 0, 1, vcc
	s_cbranch_scc1 .LBB4_102
; %bb.100:
	v_cmp_gt_f32_e64 s[0:1], v7, -v6
	s_and_b64 s[0:1], vcc, s[0:1]
	s_mov_b64 s[42:43], s[22:23]
	v_cndmask_b32_e64 v7, v7, -v6, s[0:1]
	s_add_u32 s0, s26, s40
	s_addc_u32 s1, s27, s41
	s_add_u32 s0, s28, s0
	s_addc_u32 s1, s29, s1
	;; [unrolled: 2-line block ×3, first 2 shown]
	s_mov_b32 s11, s33
.LBB4_101:                              ; =>This Inner Loop Header: Depth=1
	global_load_dword v8, v5, s[30:31]
	global_load_dword v9, v5, s[42:43]
	s_add_i32 s11, s11, -1
	s_waitcnt vmcnt(1)
	v_sub_f32_e32 v8, v8, v0
	s_waitcnt vmcnt(0)
	v_div_scale_f32 v10, s[0:1], v7, v7, v9
	v_rcp_f32_e32 v12, v10
	v_div_scale_f32 v11, vcc, v9, v7, v9
	v_fma_f32 v13, -v10, v12, 1.0
	v_fmac_f32_e32 v12, v13, v12
	v_mul_f32_e32 v13, v11, v12
	v_fma_f32 v14, -v10, v13, v11
	v_fmac_f32_e32 v13, v14, v12
	v_fma_f32 v10, -v10, v13, v11
	v_div_fmas_f32 v10, v10, v12, v13
	v_div_fixup_f32 v7, v10, v7, v9
	v_sub_f32_e32 v7, v8, v7
	v_cmp_le_f32_e32 vcc, v7, v6
	v_cmp_gt_f32_e64 s[46:47], v7, -v6
	s_nop 0
	v_addc_co_u32_e64 v2, s[0:1], 0, v2, vcc
	s_and_b64 s[0:1], vcc, s[46:47]
	s_add_u32 s30, s30, 4
	s_addc_u32 s31, s31, 0
	s_add_u32 s42, s42, 4
	s_addc_u32 s43, s43, 0
	s_cmp_lg_u32 s11, 0
	v_cndmask_b32_e64 v7, v7, -v6, s[0:1]
	s_cbranch_scc1 .LBB4_101
.LBB4_102:
	v_and_b32_e32 v4, 0x7fffffff, v4
	v_add_f32_e32 v1, v1, v4
	v_sub_f32_e32 v4, v3, v1
	v_cmp_le_f32_e64 s[0:1], v4, v6
	s_andn2_b64 vcc, exec, s[4:5]
	s_nop 0
	v_cndmask_b32_e64 v3, 0, 1, s[0:1]
	s_cbranch_vccnz .LBB4_105
; %bb.103:
	v_cmp_gt_f32_e64 s[4:5], v4, -v6
	s_and_b64 s[0:1], s[0:1], s[4:5]
	v_cndmask_b32_e64 v5, v4, -v6, s[0:1]
	s_add_u32 s0, s26, s40
	s_addc_u32 s1, s27, s41
	s_add_u32 s0, s28, s0
	s_addc_u32 s1, s29, s1
	;; [unrolled: 2-line block ×3, first 2 shown]
	v_mov_b32_e32 v4, 0
.LBB4_104:                              ; =>This Inner Loop Header: Depth=1
	global_load_dword v7, v4, s[4:5]
	global_load_dword v8, v4, s[22:23]
	s_add_i32 s33, s33, -1
	s_waitcnt vmcnt(1)
	v_sub_f32_e32 v7, v7, v1
	s_waitcnt vmcnt(0)
	v_div_scale_f32 v9, s[0:1], v5, v5, v8
	v_rcp_f32_e32 v11, v9
	v_div_scale_f32 v10, vcc, v8, v5, v8
	v_fma_f32 v12, -v9, v11, 1.0
	v_fmac_f32_e32 v11, v12, v11
	v_mul_f32_e32 v12, v10, v11
	v_fma_f32 v13, -v9, v12, v10
	v_fmac_f32_e32 v12, v13, v11
	v_fma_f32 v9, -v9, v12, v10
	v_div_fmas_f32 v9, v9, v11, v12
	v_div_fixup_f32 v5, v9, v5, v8
	v_sub_f32_e32 v5, v7, v5
	v_cmp_le_f32_e32 vcc, v5, v6
	v_cmp_gt_f32_e64 s[26:27], v5, -v6
	s_nop 0
	v_addc_co_u32_e64 v3, s[0:1], 0, v3, vcc
	s_and_b64 s[0:1], vcc, s[26:27]
	s_add_u32 s4, s4, 4
	s_addc_u32 s5, s5, 0
	s_add_u32 s22, s22, 4
	s_addc_u32 s23, s23, 0
	s_cmp_lg_u32 s33, 0
	v_cndmask_b32_e64 v5, v5, -v6, s[0:1]
	s_cbranch_scc1 .LBB4_104
.LBB4_105:
	s_ashr_i32 s11, s10, 31
	s_lshl_b64 s[0:1], s[10:11], 2
	s_add_u32 s4, s6, s0
	s_addc_u32 s5, s7, s1
	v_mov_b32_e32 v4, 0
	s_add_u32 s0, s18, s0
	s_addc_u32 s1, s19, s1
	global_store_dwordx2 v4, v[0:1], s[4:5] offset:-8
	global_store_dwordx2 v4, v[2:3], s[0:1] offset:-8
.LBB4_106:
	s_or_b64 exec, exec, s[44:45]
	s_mov_b64 s[0:1], 0
	s_barrier
                                        ; implicit-def: $vgpr2
                                        ; implicit-def: $vgpr1
	s_and_saveexec_b64 s[22:23], s[2:3]
	s_cbranch_execz .LBB4_130
; %bb.107:
	s_cmp_gt_i32 s25, 0
	s_cselect_b64 s[4:5], -1, 0
	s_cmp_lt_i32 s25, 1
	s_mov_b32 s26, 1
	s_cbranch_scc1 .LBB4_115
; %bb.108:
	s_cmp_lg_u64 s[8:9], 0
	s_cselect_b64 s[0:1], -1, 0
	s_add_u32 s11, s14, s16
	s_addc_u32 s15, s15, s17
	s_add_u32 s14, s11, 4
	v_cndmask_b32_e64 v1, 0, 1, s[0:1]
	s_addc_u32 s15, s15, 0
	v_mov_b32_e32 v0, 0
	v_cmp_ne_u32_e64 s[0:1], 1, v1
	s_branch .LBB4_110
.LBB4_109:                              ;   in Loop: Header=BB4_110 Depth=1
	s_add_i32 s26, s26, 1
	s_add_u32 s14, s14, 4
	s_addc_u32 s15, s15, 0
	s_cmp_lg_u32 s26, s10
	s_cbranch_scc0 .LBB4_115
.LBB4_110:                              ; =>This Loop Header: Depth=1
                                        ;     Child Loop BB4_111 Depth 2
	s_ashr_i32 s27, s26, 31
	s_add_i32 s11, s26, -1
	s_lshl_b64 s[28:29], s[26:27], 2
	s_add_u32 s30, s6, s28
	s_addc_u32 s31, s7, s29
	global_load_dword v1, v0, s[30:31] offset:-4
	s_mov_b64 s[42:43], s[14:15]
	s_mov_b32 s27, s26
	s_mov_b32 s40, s11
	s_waitcnt vmcnt(0)
	v_mov_b32_e32 v2, v1
.LBB4_111:                              ;   Parent Loop BB4_110 Depth=1
                                        ; =>  This Inner Loop Header: Depth=2
	global_load_dword v3, v0, s[42:43]
	s_waitcnt vmcnt(0)
	v_cmp_lt_f32_e32 vcc, v3, v2
	s_and_b64 s[44:45], vcc, exec
	s_cselect_b32 s40, s27, s40
	s_add_i32 s27, s27, 1
	s_add_u32 s42, s42, 4
	s_addc_u32 s43, s43, 0
	v_cndmask_b32_e32 v2, v2, v3, vcc
	s_cmp_eq_u32 s10, s27
	s_cbranch_scc0 .LBB4_111
; %bb.112:                              ;   in Loop: Header=BB4_110 Depth=1
	s_cmp_lg_u32 s40, s11
	s_cbranch_scc0 .LBB4_109
; %bb.113:                              ;   in Loop: Header=BB4_110 Depth=1
	s_ashr_i32 s41, s40, 31
	s_lshl_b64 s[40:41], s[40:41], 2
	s_add_u32 s42, s6, s40
	s_addc_u32 s43, s7, s41
	s_and_b64 vcc, exec, s[0:1]
	global_store_dword v0, v1, s[42:43]
	global_store_dword v0, v2, s[30:31] offset:-4
	s_cbranch_vccnz .LBB4_109
; %bb.114:                              ;   in Loop: Header=BB4_110 Depth=1
	s_add_u32 s28, s18, s28
	s_addc_u32 s29, s19, s29
	s_add_u32 s30, s18, s40
	s_addc_u32 s31, s19, s41
	global_load_dword v1, v0, s[28:29] offset:-4
	global_load_dword v2, v0, s[30:31]
	s_waitcnt vmcnt(1)
	global_store_dword v0, v1, s[30:31]
	s_waitcnt vmcnt(1)
	global_store_dword v0, v2, s[28:29] offset:-4
	s_branch .LBB4_109
.LBB4_115:
	s_ashr_i32 s11, s10, 31
	s_lshl_b64 s[0:1], s[10:11], 2
	v_mov_b32_e32 v0, 0
	s_add_u32 s14, s6, s0
	s_addc_u32 s15, s7, s1
	global_load_dword v1, v0, s[6:7]
	global_load_dword v2, v0, s[14:15] offset:-4
	v_cvt_f32_i32_e32 v3, s25
	v_cndmask_b32_e64 v4, 0, 1, s[4:5]
	s_andn2_b64 vcc, exec, s[4:5]
	v_cmp_ne_u32_e64 s[0:1], 1, v4
	s_waitcnt vmcnt(0)
	v_cmp_lt_f32_e64 s[4:5], |v1|, |v2|
	s_nop 1
	v_cndmask_b32_e64 v4, v1, v2, s[4:5]
	v_mul_f32_e64 v4, s38, |v4|
	v_fma_f32 v1, -v4, v3, v1
	v_fmac_f32_e32 v2, v4, v3
	v_sub_f32_e32 v1, v1, v6
	v_add_f32_e32 v2, v6, v2
	global_store_dword v0, v1, s[6:7]
	global_store_dword v0, v2, s[14:15] offset:-4
	s_cbranch_vccnz .LBB4_121
; %bb.116:
	s_max_i32 s11, s10, 2
	s_add_i32 s11, s11, -1
	s_add_u32 s4, s8, s16
	s_addc_u32 s5, s9, s17
	s_add_u32 s4, s4, 4
	s_addc_u32 s5, s5, 0
	s_mov_b32 s15, 0
	s_branch .LBB4_118
.LBB4_117:                              ;   in Loop: Header=BB4_118 Depth=1
	s_add_i32 s15, s15, 1
	s_add_u32 s4, s4, 4
	s_addc_u32 s5, s5, 0
	s_cmp_eq_u32 s11, s15
	s_cselect_b64 s[18:19], -1, 0
	s_mov_b32 s14, s11
	s_andn2_b64 vcc, exec, s[18:19]
	s_cbranch_vccz .LBB4_120
.LBB4_118:                              ; =>This Inner Loop Header: Depth=1
	global_load_dword v1, v0, s[4:5]
	s_mov_b64 s[18:19], -1
	s_waitcnt vmcnt(0)
	v_cmp_le_i32_e32 vcc, s36, v1
	s_cbranch_vccz .LBB4_117
; %bb.119:                              ;   in Loop: Header=BB4_118 Depth=1
                                        ; implicit-def: $sgpr4_sgpr5
	s_mov_b32 s14, s15
	s_andn2_b64 vcc, exec, s[18:19]
	s_cbranch_vccnz .LBB4_118
.LBB4_120:
	s_mov_b32 s15, 0
	s_branch .LBB4_122
.LBB4_121:
	s_mov_b64 s[14:15], 0
.LBB4_122:
	s_lshl_b64 s[4:5], s[14:15], 2
	s_add_u32 s4, s6, s4
	s_addc_u32 s5, s7, s5
	v_mov_b32_e32 v0, 0
	global_load_dword v1, v0, s[4:5]
	s_and_b64 vcc, exec, s[0:1]
	s_mov_b32 s5, 1
	s_cbranch_vccnz .LBB4_128
; %bb.123:
	s_max_i32 s10, s10, 2
	s_add_i32 s11, s10, -1
	s_add_u32 s0, s8, s16
	s_addc_u32 s1, s9, s17
	s_add_u32 s0, s0, 4
	s_addc_u32 s1, s1, 0
	s_branch .LBB4_125
.LBB4_124:                              ;   in Loop: Header=BB4_125 Depth=1
	s_mov_b32 s4, s5
                                        ; implicit-def: $sgpr0_sgpr1
	s_andn2_b64 vcc, exec, s[8:9]
	s_cbranch_vccz .LBB4_127
.LBB4_125:                              ; =>This Inner Loop Header: Depth=1
	global_load_dword v2, v0, s[0:1]
	s_mov_b64 s[8:9], -1
	s_waitcnt vmcnt(0)
	v_cmp_gt_i32_e32 vcc, s37, v2
	s_cbranch_vccz .LBB4_124
; %bb.126:                              ;   in Loop: Header=BB4_125 Depth=1
	s_add_i32 s5, s5, 1
	s_add_u32 s0, s0, 4
	s_addc_u32 s1, s1, 0
	s_cmp_eq_u32 s10, s5
	s_cselect_b64 s[8:9], -1, 0
	s_mov_b32 s4, s11
	s_andn2_b64 vcc, exec, s[8:9]
	s_cbranch_vccnz .LBB4_125
.LBB4_127:
	s_ashr_i32 s5, s4, 31
	s_branch .LBB4_129
.LBB4_128:
	s_mov_b64 s[4:5], 0
.LBB4_129:
	s_lshl_b64 s[4:5], s[4:5], 2
	s_add_u32 s4, s6, s4
	s_addc_u32 s5, s7, s5
	v_mov_b32_e32 v0, 0
	global_load_dword v2, v0, s[4:5]
	s_mov_b64 s[0:1], exec
.LBB4_130:
	s_or_b64 exec, exec, s[22:23]
.LBB4_131:
	s_and_saveexec_b64 s[4:5], s[0:1]
	s_cbranch_execz .LBB4_134
; %bb.132:
	s_and_b64 exec, exec, s[2:3]
	s_cbranch_execz .LBB4_134
; %bb.133:
	s_lshl_b64 s[0:1], s[34:35], 2
	s_add_u32 s0, s20, s0
	s_addc_u32 s1, s21, s1
	s_lshl_b32 s2, s34, 1
	s_ashr_i32 s3, s2, 31
	s_lshl_b64 s[2:3], s[2:3], 2
	s_add_u32 s2, s12, s2
	s_addc_u32 s3, s13, s3
	s_cmpk_eq_i32 s24, 0xe7
	v_mov_b32_e32 v0, 0
	s_cselect_b64 s[4:5], -1, 0
	s_waitcnt vmcnt(0)
	v_cndmask_b32_e64 v3, v2, 0, s[4:5]
	v_cndmask_b32_e64 v2, v1, 0, s[4:5]
	global_store_dword v0, v6, s[0:1]
	global_store_dwordx2 v0, v[2:3], s[2:3]
.LBB4_134:
	s_endpgm
	.section	.rodata,"a",@progbits
	.p2align	6, 0x0
	.amdhsa_kernel _ZN9rocsolver6v33100L22stebz_splitting_kernelIfPfEEv15rocblas_erange_iT_S4_iiT0_iiS5_iiPiPS4_lS6_lS6_S7_S7_S7_S7_S6_S4_S4_
		.amdhsa_group_segment_fixed_size 2048
		.amdhsa_private_segment_fixed_size 0
		.amdhsa_kernarg_size 152
		.amdhsa_user_sgpr_count 2
		.amdhsa_user_sgpr_dispatch_ptr 0
		.amdhsa_user_sgpr_queue_ptr 0
		.amdhsa_user_sgpr_kernarg_segment_ptr 1
		.amdhsa_user_sgpr_dispatch_id 0
		.amdhsa_user_sgpr_kernarg_preload_length 0
		.amdhsa_user_sgpr_kernarg_preload_offset 0
		.amdhsa_user_sgpr_private_segment_size 0
		.amdhsa_uses_dynamic_stack 0
		.amdhsa_enable_private_segment 0
		.amdhsa_system_sgpr_workgroup_id_x 1
		.amdhsa_system_sgpr_workgroup_id_y 1
		.amdhsa_system_sgpr_workgroup_id_z 0
		.amdhsa_system_sgpr_workgroup_info 0
		.amdhsa_system_vgpr_workitem_id 0
		.amdhsa_next_free_vgpr 44
		.amdhsa_next_free_sgpr 56
		.amdhsa_accum_offset 44
		.amdhsa_reserve_vcc 1
		.amdhsa_float_round_mode_32 0
		.amdhsa_float_round_mode_16_64 0
		.amdhsa_float_denorm_mode_32 3
		.amdhsa_float_denorm_mode_16_64 3
		.amdhsa_dx10_clamp 1
		.amdhsa_ieee_mode 1
		.amdhsa_fp16_overflow 0
		.amdhsa_tg_split 0
		.amdhsa_exception_fp_ieee_invalid_op 0
		.amdhsa_exception_fp_denorm_src 0
		.amdhsa_exception_fp_ieee_div_zero 0
		.amdhsa_exception_fp_ieee_overflow 0
		.amdhsa_exception_fp_ieee_underflow 0
		.amdhsa_exception_fp_ieee_inexact 0
		.amdhsa_exception_int_div_zero 0
	.end_amdhsa_kernel
	.section	.text._ZN9rocsolver6v33100L22stebz_splitting_kernelIfPfEEv15rocblas_erange_iT_S4_iiT0_iiS5_iiPiPS4_lS6_lS6_S7_S7_S7_S7_S6_S4_S4_,"axG",@progbits,_ZN9rocsolver6v33100L22stebz_splitting_kernelIfPfEEv15rocblas_erange_iT_S4_iiT0_iiS5_iiPiPS4_lS6_lS6_S7_S7_S7_S7_S6_S4_S4_,comdat
.Lfunc_end4:
	.size	_ZN9rocsolver6v33100L22stebz_splitting_kernelIfPfEEv15rocblas_erange_iT_S4_iiT0_iiS5_iiPiPS4_lS6_lS6_S7_S7_S7_S7_S6_S4_S4_, .Lfunc_end4-_ZN9rocsolver6v33100L22stebz_splitting_kernelIfPfEEv15rocblas_erange_iT_S4_iiT0_iiS5_iiPiPS4_lS6_lS6_S7_S7_S7_S7_S6_S4_S4_
                                        ; -- End function
	.set _ZN9rocsolver6v33100L22stebz_splitting_kernelIfPfEEv15rocblas_erange_iT_S4_iiT0_iiS5_iiPiPS4_lS6_lS6_S7_S7_S7_S7_S6_S4_S4_.num_vgpr, 44
	.set _ZN9rocsolver6v33100L22stebz_splitting_kernelIfPfEEv15rocblas_erange_iT_S4_iiT0_iiS5_iiPiPS4_lS6_lS6_S7_S7_S7_S7_S6_S4_S4_.num_agpr, 0
	.set _ZN9rocsolver6v33100L22stebz_splitting_kernelIfPfEEv15rocblas_erange_iT_S4_iiT0_iiS5_iiPiPS4_lS6_lS6_S7_S7_S7_S7_S6_S4_S4_.numbered_sgpr, 56
	.set _ZN9rocsolver6v33100L22stebz_splitting_kernelIfPfEEv15rocblas_erange_iT_S4_iiT0_iiS5_iiPiPS4_lS6_lS6_S7_S7_S7_S7_S6_S4_S4_.num_named_barrier, 0
	.set _ZN9rocsolver6v33100L22stebz_splitting_kernelIfPfEEv15rocblas_erange_iT_S4_iiT0_iiS5_iiPiPS4_lS6_lS6_S7_S7_S7_S7_S6_S4_S4_.private_seg_size, 0
	.set _ZN9rocsolver6v33100L22stebz_splitting_kernelIfPfEEv15rocblas_erange_iT_S4_iiT0_iiS5_iiPiPS4_lS6_lS6_S7_S7_S7_S7_S6_S4_S4_.uses_vcc, 1
	.set _ZN9rocsolver6v33100L22stebz_splitting_kernelIfPfEEv15rocblas_erange_iT_S4_iiT0_iiS5_iiPiPS4_lS6_lS6_S7_S7_S7_S7_S6_S4_S4_.uses_flat_scratch, 0
	.set _ZN9rocsolver6v33100L22stebz_splitting_kernelIfPfEEv15rocblas_erange_iT_S4_iiT0_iiS5_iiPiPS4_lS6_lS6_S7_S7_S7_S7_S6_S4_S4_.has_dyn_sized_stack, 0
	.set _ZN9rocsolver6v33100L22stebz_splitting_kernelIfPfEEv15rocblas_erange_iT_S4_iiT0_iiS5_iiPiPS4_lS6_lS6_S7_S7_S7_S7_S6_S4_S4_.has_recursion, 0
	.set _ZN9rocsolver6v33100L22stebz_splitting_kernelIfPfEEv15rocblas_erange_iT_S4_iiT0_iiS5_iiPiPS4_lS6_lS6_S7_S7_S7_S7_S6_S4_S4_.has_indirect_call, 0
	.section	.AMDGPU.csdata,"",@progbits
; Kernel info:
; codeLenInByte = 6000
; TotalNumSgprs: 62
; NumVgprs: 44
; NumAgprs: 0
; TotalNumVgprs: 44
; ScratchSize: 0
; MemoryBound: 0
; FloatMode: 240
; IeeeMode: 1
; LDSByteSize: 2048 bytes/workgroup (compile time only)
; SGPRBlocks: 7
; VGPRBlocks: 5
; NumSGPRsForWavesPerEU: 62
; NumVGPRsForWavesPerEU: 44
; AccumOffset: 44
; Occupancy: 8
; WaveLimiterHint : 1
; COMPUTE_PGM_RSRC2:SCRATCH_EN: 0
; COMPUTE_PGM_RSRC2:USER_SGPR: 2
; COMPUTE_PGM_RSRC2:TRAP_HANDLER: 0
; COMPUTE_PGM_RSRC2:TGID_X_EN: 1
; COMPUTE_PGM_RSRC2:TGID_Y_EN: 1
; COMPUTE_PGM_RSRC2:TGID_Z_EN: 0
; COMPUTE_PGM_RSRC2:TIDIG_COMP_CNT: 0
; COMPUTE_PGM_RSRC3_GFX90A:ACCUM_OFFSET: 10
; COMPUTE_PGM_RSRC3_GFX90A:TG_SPLIT: 0
	.section	.text._ZN9rocsolver6v33100L22stebz_bisection_kernelIfPfEEv15rocblas_erange_iT_T0_iiS5_iiPiPS4_lS6_lS6_lS6_S6_S7_S7_S7_S7_S6_S4_S4_,"axG",@progbits,_ZN9rocsolver6v33100L22stebz_bisection_kernelIfPfEEv15rocblas_erange_iT_T0_iiS5_iiPiPS4_lS6_lS6_lS6_S6_S7_S7_S7_S7_S6_S4_S4_,comdat
	.globl	_ZN9rocsolver6v33100L22stebz_bisection_kernelIfPfEEv15rocblas_erange_iT_T0_iiS5_iiPiPS4_lS6_lS6_lS6_S6_S7_S7_S7_S7_S6_S4_S4_ ; -- Begin function _ZN9rocsolver6v33100L22stebz_bisection_kernelIfPfEEv15rocblas_erange_iT_T0_iiS5_iiPiPS4_lS6_lS6_lS6_S6_S7_S7_S7_S7_S6_S4_S4_
	.p2align	8
	.type	_ZN9rocsolver6v33100L22stebz_bisection_kernelIfPfEEv15rocblas_erange_iT_T0_iiS5_iiPiPS4_lS6_lS6_lS6_S6_S7_S7_S7_S7_S6_S4_S4_,@function
_ZN9rocsolver6v33100L22stebz_bisection_kernelIfPfEEv15rocblas_erange_iT_T0_iiS5_iiPiPS4_lS6_lS6_lS6_S6_S7_S7_S7_S7_S6_S4_S4_: ; @_ZN9rocsolver6v33100L22stebz_bisection_kernelIfPfEEv15rocblas_erange_iT_T0_iiS5_iiPiPS4_lS6_lS6_lS6_S6_S7_S7_S7_S7_S6_S4_S4_
; %bb.0:
	s_load_dwordx16 s[4:19], s[0:1], 0x30
	s_mov_b32 s34, s3
	s_ashr_i32 s35, s3, 31
	s_lshl_b64 s[56:57], s[34:35], 2
	s_waitcnt lgkmcnt(0)
	s_add_u32 s4, s4, s56
	s_addc_u32 s5, s5, s57
	s_load_dword s33, s[4:5], 0x0
	s_waitcnt lgkmcnt(0)
	s_cmp_ge_i32 s2, s33
	s_cbranch_scc1 .LBB5_96
; %bb.1:
	s_load_dwordx8 s[20:27], s[0:1], 0x0
	s_load_dwordx4 s[28:31], s[0:1], 0x20
	s_load_dwordx8 s[36:43], s[0:1], 0x70
	s_load_dwordx4 s[44:47], s[0:1], 0x90
	s_waitcnt lgkmcnt(0)
	s_load_dword s23, s[0:1], 0xa0
	s_mul_hi_i32 s5, s27, s34
	s_mul_i32 s4, s27, s34
                                        ; kill: killed $sgpr0_sgpr1
	s_ashr_i32 s1, s26, 31
	s_lshl_b64 s[48:49], s[4:5], 2
	s_mov_b32 s0, s26
	s_add_u32 s3, s24, s48
	s_addc_u32 s4, s25, s49
	s_lshl_b64 s[50:51], s[0:1], 2
	s_add_u32 s58, s3, s50
	s_addc_u32 s59, s4, s51
	s_mul_hi_i32 s5, s31, s34
	s_mul_i32 s4, s31, s34
	s_ashr_i32 s1, s30, 31
	s_lshl_b64 s[52:53], s[4:5], 2
	s_mov_b32 s0, s30
	s_add_u32 s3, s28, s52
	s_addc_u32 s4, s29, s53
	s_lshl_b64 s[54:55], s[0:1], 2
	s_add_u32 s60, s3, s54
	s_mul_i32 s0, s8, s35
	s_mul_hi_u32 s1, s8, s34
	s_addc_u32 s61, s4, s55
	s_add_i32 s0, s1, s0
	s_mul_i32 s1, s9, s34
	s_add_i32 s1, s0, s1
	s_mul_i32 s0, s8, s34
	s_lshl_b64 s[0:1], s[0:1], 2
	s_add_u32 s62, s6, s0
	s_addc_u32 s63, s7, s1
	s_mul_i32 s0, s12, s35
	s_mul_hi_u32 s1, s12, s34
	s_add_i32 s0, s1, s0
	s_mul_i32 s1, s13, s34
	s_add_i32 s1, s0, s1
	s_mul_i32 s0, s12, s34
	s_lshl_b64 s[0:1], s[0:1], 2
	s_add_u32 s64, s10, s0
	s_addc_u32 s65, s11, s1
	s_mul_i32 s0, s16, s35
	s_mul_hi_u32 s1, s16, s34
	s_add_i32 s0, s1, s0
	s_mul_i32 s1, s17, s34
	s_add_i32 s1, s0, s1
	s_mul_i32 s0, s16, s34
	s_lshl_b64 s[0:1], s[0:1], 2
	s_add_u32 s66, s14, s0
	s_addc_u32 s67, s15, s1
	s_add_i32 s0, s21, -1
	s_mul_i32 s0, s0, s34
	s_ashr_i32 s1, s0, 31
	s_lshl_b64 s[0:1], s[0:1], 2
	s_add_u32 s68, s40, s0
	s_addc_u32 s69, s41, s1
	s_lshl_b32 s0, s34, 1
	s_ashr_i32 s1, s0, 31
	s_lshl_b64 s[0:1], s[0:1], 2
	s_add_u32 s16, s42, s0
	s_addc_u32 s17, s43, s1
	s_add_u32 s0, s38, s56
	s_addc_u32 s1, s39, s57
	s_load_dword s26, s[0:1], 0x0
	s_add_u32 s18, s18, s56
	s_mul_i32 s0, s21, s34
	s_addc_u32 s19, s19, s57
	s_lshl_b32 s4, s0, 2
	s_ashr_i32 s5, s4, 31
	s_lshl_b64 s[4:5], s[4:5], 2
	s_add_u32 s30, s44, s4
	s_addc_u32 s31, s45, s5
	s_add_u32 s34, s46, s4
	s_addc_u32 s35, s47, s5
	s_ashr_i32 s1, s0, 31
	s_lshl_b64 s[0:1], s[0:1], 2
	s_add_u32 s56, s36, s0
	s_addc_u32 s57, s37, s1
	v_mov_b32_e32 v2, 0x800000
	s_cmpk_lg_i32 s20, 0xe7
	s_waitcnt lgkmcnt(0)
	v_cmp_lt_f32_e32 vcc, s26, v2
	s_cselect_b64 s[36:37], -1, 0
	s_and_b64 s[6:7], vcc, exec
	s_cselect_b32 s3, 32, 0
	v_mov_b32_e32 v3, s3
	s_add_u32 s3, s48, s50
	v_ldexp_f32 v3, s26, v3
	s_addc_u32 s12, s49, s51
	v_log_f32_e32 v3, v3
	s_add_u32 s3, s24, s3
	s_addc_u32 s12, s25, s12
	s_add_u32 s72, s3, 4
	s_addc_u32 s73, s12, 0
	s_mov_b32 s70, 0x3f317217
	v_mul_f32_e32 v4, 0x3f317217, v3
	s_add_u32 s3, s52, s54
	v_fma_f32 v4, v3, s70, -v4
	s_addc_u32 s12, s53, s55
	v_mov_b32_e32 v1, 0x41b17218
	v_fmac_f32_e32 v4, 0x3377d1cf, v3
	s_mov_b32 s71, 0x7f800000
	s_add_u32 s3, s28, s3
	v_cndmask_b32_e32 v2, 0, v1, vcc
	v_fmac_f32_e32 v4, 0x3f317217, v3
	v_cmp_lt_f32_e64 vcc, |v3|, s71
	s_addc_u32 s12, s29, s12
	v_mov_b32_e32 v13, 0x1000
	v_cndmask_b32_e32 v3, v3, v4, vcc
	v_lshlrev_b32_e32 v15, 4, v0
	v_and_b32_e32 v18, 0x7c, v0
	s_add_u32 s54, s3, 4
	s_mov_b32 s24, 0xfefa39ef
	v_cmp_lt_f32_e64 s[0:1], s22, 0
	v_cmp_eq_u32_e64 s[4:5], 0, v0
	v_cmp_ne_u32_e64 s[6:7], 0, v0
	s_mov_b32 s20, 0x800000
	v_sub_f32_e32 v12, v3, v2
	v_lshl_or_b32 v14, v0, 2, v13
	v_or_b32_e32 v16, 0x800, v15
	v_add_f32_e64 v17, s23, s23
	s_mov_b32 s27, s26
	v_cmp_lt_u32_e64 s[8:9], 3, v0
	v_cmp_ne_u32_e64 s[10:11], v0, v18
	s_addc_u32 s55, s12, 0
	v_mov_b32_e32 v19, 0
	s_mov_b32 s25, 0x3fe62e42
	v_mov_b32_e32 v20, 1
                                        ; implicit-def: $sgpr74
                                        ; implicit-def: $sgpr75
                                        ; implicit-def: $sgpr76
                                        ; implicit-def: $sgpr77
                                        ; implicit-def: $vgpr22
	s_branch .LBB5_4
.LBB5_2:                                ;   in Loop: Header=BB5_4 Depth=1
	s_or_b64 exec, exec, s[12:13]
	v_mov_b32_e32 v5, v22
	s_mov_b32 s79, s77
	s_mov_b32 s3, s76
	s_mov_b32 s80, s75
	s_mov_b32 s78, s74
.LBB5_3:                                ;   in Loop: Header=BB5_4 Depth=1
	s_add_i32 s2, s2, 64
	s_cmp_lt_i32 s2, s33
	s_mov_b32 s74, s78
	s_mov_b32 s75, s80
	;; [unrolled: 1-line block ×4, first 2 shown]
	v_mov_b32_e32 v22, v5
	s_barrier
	s_cbranch_scc0 .LBB5_96
.LBB5_4:                                ; =>This Loop Header: Depth=1
                                        ;     Child Loop BB5_9 Depth 2
                                        ;     Child Loop BB5_20 Depth 2
	;; [unrolled: 1-line block ×4, first 2 shown]
                                        ;       Child Loop BB5_37 Depth 3
                                        ;         Child Loop BB5_40 Depth 4
                                        ;         Child Loop BB5_54 Depth 4
	;; [unrolled: 1-line block ×3, first 2 shown]
                                        ;     Child Loop BB5_75 Depth 2
                                        ;       Child Loop BB5_78 Depth 3
                                        ;       Child Loop BB5_82 Depth 3
	s_ashr_i32 s3, s2, 31
	s_cmp_eq_u32 s2, 0
	s_mov_b32 s38, 0
	s_cbranch_scc1 .LBB5_6
; %bb.5:                                ;   in Loop: Header=BB5_4 Depth=1
	s_lshl_b64 s[12:13], s[2:3], 2
	s_add_u32 s12, s66, s12
	s_addc_u32 s13, s67, s13
	global_load_dword v2, v19, s[12:13] offset:-4
	s_waitcnt vmcnt(0)
	v_readfirstlane_b32 s38, v2
.LBB5_6:                                ;   in Loop: Header=BB5_4 Depth=1
	s_lshl_b64 s[28:29], s[2:3], 2
	s_add_u32 s12, s66, s28
	s_addc_u32 s13, s67, s29
	global_load_dword v2, v19, s[12:13]
	s_waitcnt vmcnt(0)
	v_readfirstlane_b32 s80, v2
	s_sub_i32 s14, s80, s38
	s_cmp_lg_u32 s14, 1
	s_cbranch_scc0 .LBB5_69
; %bb.7:                                ;   in Loop: Header=BB5_4 Depth=1
	s_ashr_i32 s39, s38, 31
	s_lshl_b64 s[42:43], s[38:39], 2
	s_add_u32 s40, s58, s42
	s_addc_u32 s41, s59, s43
	s_add_u32 s12, s60, s42
	s_addc_u32 s13, s61, s43
	global_load_dword v2, v19, s[12:13]
	global_load_dword v7, v19, s[40:41]
	s_cmp_lt_i32 s14, 3
	s_waitcnt vmcnt(1)
	v_and_b32_e32 v4, 0x7fffffff, v2
	s_waitcnt vmcnt(0)
	v_sub_f32_e64 v3, v7, |v2|
	v_add_f32_e64 v2, v7, |v2|
	s_cbranch_scc1 .LBB5_10
; %bb.8:                                ;   in Loop: Header=BB5_4 Depth=1
	s_add_i32 s3, s14, -2
	s_add_u32 s12, s72, s42
	s_addc_u32 s13, s73, s43
	s_add_u32 s44, s54, s42
	s_addc_u32 s45, s55, s43
.LBB5_9:                                ;   Parent Loop BB5_4 Depth=1
                                        ; =>  This Inner Loop Header: Depth=2
	global_load_dword v5, v19, s[12:13]
	global_load_dword v6, v19, s[44:45]
	v_mov_b32_e32 v8, v4
	s_add_i32 s3, s3, -1
	s_add_u32 s12, s12, 4
	s_addc_u32 s13, s13, 0
	s_add_u32 s44, s44, 4
	s_addc_u32 s45, s45, 0
	s_cmp_lg_u32 s3, 0
	s_waitcnt vmcnt(1)
	v_sub_f32_e32 v9, v5, v8
	v_add_f32_e32 v5, v8, v5
	s_waitcnt vmcnt(0)
	v_sub_f32_e64 v8, v9, |v6|
	v_add_f32_e64 v5, v5, |v6|
	v_cmp_lt_f32_e32 vcc, v8, v3
	v_and_b32_e32 v4, 0x7fffffff, v6
	s_nop 0
	v_cndmask_b32_e32 v3, v3, v8, vcc
	v_cmp_lt_f32_e32 vcc, v2, v5
	s_nop 1
	v_cndmask_b32_e32 v2, v2, v5, vcc
	s_cbranch_scc1 .LBB5_9
.LBB5_10:                               ;   in Loop: Header=BB5_4 Depth=1
	s_ashr_i32 s15, s14, 31
	s_lshl_b64 s[12:13], s[14:15], 2
	s_add_u32 s12, s40, s12
	s_addc_u32 s13, s41, s13
	global_load_dword v5, v19, s[12:13] offset:-4
	v_cvt_f32_i32_e32 v8, s14
	s_waitcnt vmcnt(0)
	v_sub_f32_e32 v6, v5, v4
	v_add_f32_e32 v4, v4, v5
	v_cmp_lt_f32_e32 vcc, v6, v3
	s_nop 1
	v_cndmask_b32_e32 v3, v3, v6, vcc
	v_cmp_lt_f32_e32 vcc, v2, v4
	s_nop 1
	v_cndmask_b32_e32 v5, v2, v4, vcc
	v_cmp_lt_f32_e64 vcc, |v3|, |v5|
	s_nop 1
	v_cndmask_b32_e32 v2, v3, v5, vcc
	v_mul_f32_e64 v6, s23, |v2|
	v_fma_f32 v4, -v6, v8, v3
	v_fmac_f32_e32 v5, v6, v8
	v_pk_add_f32 v[2:3], v[4:5], s[26:27] neg_lo:[0,1] neg_hi:[0,1]
	v_pk_add_f32 v[4:5], v[4:5], s[26:27]
	s_andn2_b64 vcc, exec, s[36:37]
	v_mov_b32_e32 v3, v5
	s_cbranch_vccnz .LBB5_12
; %bb.11:                               ;   in Loop: Header=BB5_4 Depth=1
	global_load_dwordx2 v[8:9], v19, s[16:17]
	s_waitcnt vmcnt(0)
	v_cmp_lt_f32_e32 vcc, v2, v8
	s_nop 1
	v_cndmask_b32_e32 v2, v2, v8, vcc
	v_cmp_lt_f32_e32 vcc, v9, v5
	s_nop 1
	v_cndmask_b32_e32 v3, v5, v9, vcc
.LBB5_12:                               ;   in Loop: Header=BB5_4 Depth=1
	v_cmp_nlt_f32_e32 vcc, v2, v3
	s_mov_b64 s[12:13], -1
	s_cbranch_vccz .LBB5_16
; %bb.13:                               ;   in Loop: Header=BB5_4 Depth=1
	s_and_saveexec_b64 s[12:13], s[4:5]
	s_cbranch_execz .LBB5_15
; %bb.14:                               ;   in Loop: Header=BB5_4 Depth=1
	s_add_u32 s44, s56, s28
	s_addc_u32 s45, s57, s29
	ds_write_b16 v19, v19 offset:4612
	global_store_dword v19, v19, s[44:45]
.LBB5_15:                               ;   in Loop: Header=BB5_4 Depth=1
	s_or_b64 exec, exec, s[12:13]
	s_mov_b64 s[12:13], 0
.LBB5_16:                               ;   in Loop: Header=BB5_4 Depth=1
	s_andn2_b64 vcc, exec, s[12:13]
	v_mov_b32_e32 v5, v22
	s_mov_b32 s79, s77
	s_mov_b32 s3, s76
	;; [unrolled: 1-line block ×3, first 2 shown]
	s_cbranch_vccnz .LBB5_29
; %bb.17:                               ;   in Loop: Header=BB5_4 Depth=1
	v_sub_f32_e32 v4, v3, v2
	v_add_f32_e32 v4, s26, v4
	v_cmp_gt_f32_e32 vcc, s20, v4
	s_and_b64 s[12:13], vcc, exec
	s_cselect_b32 s3, 32, 0
	v_ldexp_f32 v4, v4, s3
	v_log_f32_e32 v4, v4
	v_cndmask_b32_e32 v5, 0, v1, vcc
	v_mul_f32_e32 v8, 0x3f317217, v4
	v_fma_f32 v8, v4, s70, -v8
	v_fmac_f32_e32 v8, 0x3377d1cf, v4
	v_fmac_f32_e32 v8, 0x3f317217, v4
	v_cmp_lt_f32_e64 vcc, |v4|, s71
	s_nop 1
	v_cndmask_b32_e32 v4, v4, v8, vcc
	v_sub_f32_e32 v4, v4, v5
	v_sub_f32_e32 v4, v4, v12
	v_cvt_f64_f32_e32 v[4:5], v4
	v_div_scale_f64 v[8:9], s[12:13], s[24:25], s[24:25], v[4:5]
	v_rcp_f64_e32 v[10:11], v[8:9]
	v_div_scale_f64 v[24:25], vcc, v[4:5], s[24:25], v[4:5]
	v_fma_f64 v[26:27], -v[8:9], v[10:11], 1.0
	v_fmac_f64_e32 v[10:11], v[10:11], v[26:27]
	v_fma_f64 v[26:27], -v[8:9], v[10:11], 1.0
	v_fmac_f64_e32 v[10:11], v[10:11], v[26:27]
	v_mul_f64 v[26:27], v[24:25], v[10:11]
	v_fma_f64 v[8:9], -v[8:9], v[26:27], v[24:25]
	v_div_fmas_f64 v[8:9], v[8:9], v[10:11], v[26:27]
	v_div_fixup_f64 v[4:5], v[8:9], s[24:25], v[4:5]
	v_cvt_i32_f64_e32 v4, v[4:5]
	v_mov_b32_e32 v5, v22
	v_readfirstlane_b32 s3, v4
	s_and_saveexec_b64 s[44:45], s[4:5]
	s_cbranch_execz .LBB5_28
; %bb.18:                               ;   in Loop: Header=BB5_4 Depth=1
	s_add_u32 s46, s68, s42
	s_addc_u32 s47, s69, s43
	v_sub_f32_e32 v5, v7, v2
	s_cmp_gt_i32 s14, 1
	v_cmp_ge_f32_e32 vcc, s26, v5
	s_cselect_b64 s[48:49], -1, 0
	s_cmp_lt_i32 s14, 2
	v_cndmask_b32_e64 v4, 0, 1, vcc
	ds_write_b8 v19, v19 offset:4613
	s_cbranch_scc1 .LBB5_21
; %bb.19:                               ;   in Loop: Header=BB5_4 Depth=1
	v_cmp_gt_f32_e64 s[12:13], v5, -s26
	v_mov_b32_e32 v8, s26
	s_and_b64 s[12:13], vcc, s[12:13]
	v_cndmask_b32_e64 v5, v5, -v8, s[12:13]
	s_not_b32 s12, s38
	s_add_i32 s15, s12, s80
	s_add_u32 s50, s72, s42
	s_addc_u32 s51, s73, s43
	s_mov_b64 s[52:53], s[46:47]
.LBB5_20:                               ;   Parent Loop BB5_4 Depth=1
                                        ; =>  This Inner Loop Header: Depth=2
	global_load_dword v8, v19, s[50:51]
	global_load_dword v9, v19, s[52:53]
	s_add_i32 s15, s15, -1
	v_mov_b32_e32 v10, s26
	s_waitcnt vmcnt(1)
	v_sub_f32_e32 v8, v8, v2
	s_waitcnt vmcnt(0)
	v_div_scale_f32 v11, s[12:13], v5, v5, v9
	v_rcp_f32_e32 v23, v11
	v_div_scale_f32 v21, vcc, v9, v5, v9
	v_fma_f32 v24, -v11, v23, 1.0
	v_fmac_f32_e32 v23, v24, v23
	v_mul_f32_e32 v24, v21, v23
	v_fma_f32 v25, -v11, v24, v21
	v_fmac_f32_e32 v24, v25, v23
	v_fma_f32 v11, -v11, v24, v21
	v_div_fmas_f32 v11, v11, v23, v24
	v_div_fixup_f32 v5, v11, v5, v9
	v_sub_f32_e32 v5, v8, v5
	v_cmp_ge_f32_e32 vcc, s26, v5
	v_cmp_gt_f32_e64 s[78:79], v5, -s26
	s_nop 0
	v_addc_co_u32_e64 v4, s[12:13], 0, v4, vcc
	s_and_b64 s[12:13], vcc, s[78:79]
	s_add_u32 s50, s50, 4
	s_addc_u32 s51, s51, 0
	s_add_u32 s52, s52, 4
	s_addc_u32 s53, s53, 0
	s_cmp_lg_u32 s15, 0
	v_cndmask_b32_e64 v5, v5, -v10, s[12:13]
	s_cbranch_scc1 .LBB5_20
.LBB5_21:                               ;   in Loop: Header=BB5_4 Depth=1
	v_sub_f32_e32 v7, v7, v3
	v_cmp_ge_f32_e64 s[12:13], s26, v7
	s_andn2_b64 vcc, exec, s[48:49]
	s_nop 0
	v_cndmask_b32_e64 v5, 0, 1, s[12:13]
	s_cbranch_vccnz .LBB5_24
; %bb.22:                               ;   in Loop: Header=BB5_4 Depth=1
	v_cmp_gt_f32_e64 s[48:49], v7, -s26
	v_mov_b32_e32 v8, s26
	s_and_b64 s[12:13], s[12:13], s[48:49]
	v_cndmask_b32_e64 v7, v7, -v8, s[12:13]
	s_not_b32 s12, s38
	s_add_i32 s15, s12, s80
	s_add_u32 s48, s72, s42
	s_addc_u32 s49, s73, s43
.LBB5_23:                               ;   Parent Loop BB5_4 Depth=1
                                        ; =>  This Inner Loop Header: Depth=2
	global_load_dword v8, v19, s[48:49]
	global_load_dword v9, v19, s[46:47]
	s_add_i32 s15, s15, -1
	v_mov_b32_e32 v10, s26
	s_waitcnt vmcnt(1)
	v_sub_f32_e32 v8, v8, v3
	s_waitcnt vmcnt(0)
	v_div_scale_f32 v11, s[12:13], v7, v7, v9
	v_rcp_f32_e32 v23, v11
	v_div_scale_f32 v21, vcc, v9, v7, v9
	v_fma_f32 v24, -v11, v23, 1.0
	v_fmac_f32_e32 v23, v24, v23
	v_mul_f32_e32 v24, v21, v23
	v_fma_f32 v25, -v11, v24, v21
	v_fmac_f32_e32 v24, v25, v23
	v_fma_f32 v11, -v11, v24, v21
	v_div_fmas_f32 v11, v11, v23, v24
	v_div_fixup_f32 v7, v11, v7, v9
	v_sub_f32_e32 v7, v8, v7
	v_cmp_ge_f32_e32 vcc, s26, v7
	v_cmp_gt_f32_e64 s[50:51], v7, -s26
	s_nop 0
	v_addc_co_u32_e64 v5, s[12:13], 0, v5, vcc
	s_and_b64 s[12:13], vcc, s[50:51]
	s_add_u32 s48, s48, 4
	s_addc_u32 s49, s49, 0
	s_add_u32 s46, s46, 4
	s_addc_u32 s47, s47, 0
	s_cmp_lg_u32 s15, 0
	v_cndmask_b32_e64 v7, v7, -v10, s[12:13]
	s_cbranch_scc1 .LBB5_23
.LBB5_24:                               ;   in Loop: Header=BB5_4 Depth=1
	v_sub_u32_e32 v7, v5, v4
	v_cmp_gt_i32_e32 vcc, 1, v7
	s_mov_b64 s[12:13], -1
	s_cbranch_vccz .LBB5_26
; %bb.25:                               ;   in Loop: Header=BB5_4 Depth=1
	s_add_u32 s12, s56, s28
	s_addc_u32 s13, s57, s29
	ds_write_b8 v19, v19 offset:4612
	global_store_dword v19, v19, s[12:13]
	s_mov_b64 s[12:13], 0
.LBB5_26:                               ;   in Loop: Header=BB5_4 Depth=1
	s_andn2_b64 vcc, exec, s[12:13]
	s_cbranch_vccnz .LBB5_28
; %bb.27:                               ;   in Loop: Header=BB5_4 Depth=1
	s_add_i32 s12, s38, s21
	s_lshl_b32 s12, s12, 1
	s_ashr_i32 s13, s12, 31
	s_lshl_b64 s[12:13], s[12:13], 2
	s_add_u32 s46, s30, s12
	s_addc_u32 s47, s31, s13
	global_store_dwordx2 v19, v[2:3], s[46:47]
	s_add_u32 s46, s56, s28
	s_addc_u32 s47, s57, s29
	s_add_u32 s12, s34, s12
	s_addc_u32 s13, s35, s13
	ds_write_b8 v19, v20 offset:4612
	global_store_dword v19, v7, s[46:47]
	global_store_dwordx2 v19, v[4:5], s[12:13]
.LBB5_28:                               ;   in Loop: Header=BB5_4 Depth=1
	s_or_b64 exec, exec, s[44:45]
	s_add_i32 s3, s3, 2
	s_mov_b32 s78, 0
	s_mov_b32 s79, 1
.LBB5_29:                               ;   in Loop: Header=BB5_4 Depth=1
	s_waitcnt lgkmcnt(0)
	s_barrier
	ds_read_u16 v2, v19 offset:4612
	s_waitcnt lgkmcnt(0)
	v_readfirstlane_b32 s12, v2
	s_bitcmp1_b32 s12, 0
	s_cselect_b64 s[48:49], -1, 0
	s_bitcmp1_b32 s12, 8
	s_cselect_b64 s[12:13], -1, 0
	s_xor_b64 s[44:45], s[12:13], -1
	s_and_b64 s[44:45], s[48:49], s[44:45]
	s_cmp_lt_i32 s78, s3
	s_cselect_b64 s[46:47], -1, 0
	s_and_b64 s[44:45], s[44:45], s[46:47]
	s_andn2_b64 vcc, exec, s[44:45]
	s_cbranch_vccnz .LBB5_70
; %bb.30:                               ;   in Loop: Header=BB5_4 Depth=1
	s_add_i32 s12, s38, s21
	s_lshl_b32 s81, s38, 1
	s_lshl_b32 s82, s12, 1
	s_add_u32 s44, s68, s42
	s_addc_u32 s45, s69, s43
	s_cmp_gt_i32 s14, 1
	v_mov_b32_e32 v2, s22
	s_cselect_b64 s[46:47], -1, 0
	s_not_b32 s83, s38
	v_cndmask_b32_e64 v2, v2, v6, s[0:1]
	s_add_i32 s83, s83, s80
	v_mov_b32_e32 v3, s26
	v_cmp_gt_f32_e32 vcc, s26, v2
	s_add_u32 s42, s72, s42
	s_addc_u32 s43, s73, s43
	v_cndmask_b32_e32 v21, v2, v3, vcc
	s_branch .LBB5_32
.LBB5_31:                               ;   in Loop: Header=BB5_32 Depth=2
	s_or_b64 exec, exec, s[12:13]
	s_waitcnt lgkmcnt(0)
	s_barrier
	ds_read_u16 v2, v19 offset:4612
	s_add_i32 s78, s78, 1
	s_waitcnt lgkmcnt(0)
	v_readfirstlane_b32 s12, v2
	s_bitcmp1_b32 s12, 0
	s_cselect_b64 s[48:49], -1, 0
	s_bitcmp1_b32 s12, 8
	s_cselect_b64 s[12:13], -1, 0
	s_xor_b64 s[14:15], s[12:13], -1
	s_and_b64 s[14:15], s[48:49], s[14:15]
	s_cmp_lt_i32 s78, s3
	s_cselect_b64 s[50:51], -1, 0
	s_and_b64 s[14:15], s[14:15], s[50:51]
	s_and_b64 vcc, exec, s[14:15]
	s_cbranch_vccz .LBB5_71
.LBB5_32:                               ;   Parent Loop BB5_4 Depth=1
                                        ; =>  This Loop Header: Depth=2
                                        ;       Child Loop BB5_37 Depth 3
                                        ;         Child Loop BB5_40 Depth 4
                                        ;         Child Loop BB5_54 Depth 4
	;; [unrolled: 1-line block ×3, first 2 shown]
	s_and_saveexec_b64 s[12:13], s[4:5]
; %bb.33:                               ;   in Loop: Header=BB5_32 Depth=2
	ds_write_b32 v19, v19 offset:4608
; %bb.34:                               ;   in Loop: Header=BB5_32 Depth=2
	s_or_b64 exec, exec, s[12:13]
	s_bitcmp0_b32 s78, 0
	s_cselect_b64 s[12:13], -1, 0
	s_and_b64 s[14:15], s[12:13], exec
	s_cselect_b32 s80, s81, s82
	s_cmp_lt_i32 s79, 1
	s_cbranch_scc1 .LBB5_66
; %bb.35:                               ;   in Loop: Header=BB5_32 Depth=2
	s_and_b64 s[12:13], s[12:13], exec
	s_cselect_b32 s84, s82, s81
	s_mov_b32 s85, 0
	s_branch .LBB5_37
.LBB5_36:                               ;   in Loop: Header=BB5_37 Depth=3
	s_or_b64 exec, exec, s[12:13]
	s_addk_i32 s85, 0x80
	s_cmp_ge_i32 s85, s79
	s_waitcnt lgkmcnt(0)
	s_barrier
	s_cbranch_scc1 .LBB5_66
.LBB5_37:                               ;   Parent Loop BB5_4 Depth=1
                                        ;     Parent Loop BB5_32 Depth=2
                                        ; =>    This Loop Header: Depth=3
                                        ;         Child Loop BB5_40 Depth 4
                                        ;         Child Loop BB5_54 Depth 4
	;; [unrolled: 1-line block ×3, first 2 shown]
	v_add_u32_e32 v2, s85, v0
	v_cmp_gt_i32_e64 s[12:13], s79, v2
	s_and_saveexec_b64 s[48:49], s[12:13]
	s_cbranch_execz .LBB5_50
; %bb.38:                               ;   in Loop: Header=BB5_37 Depth=3
	v_lshl_add_u32 v2, v2, 1, s84
	v_ashrrev_i32_e32 v3, 31, v2
	v_lshlrev_b64 v[4:5], 2, v[2:3]
	v_lshl_add_u64 v[2:3], s[30:31], 0, v[4:5]
	global_load_dwordx2 v[10:11], v[2:3], off
	s_nop 0
	global_load_dword v3, v19, s[40:41]
	v_lshl_add_u64 v[4:5], s[34:35], 0, v[4:5]
	global_load_dwordx2 v[4:5], v[4:5], off
	s_andn2_b64 vcc, exec, s[46:47]
	s_waitcnt vmcnt(2)
	v_add_f32_e32 v2, v10, v11
	s_waitcnt vmcnt(1)
	v_fmac_f32_e32 v3, -0.5, v2
	v_cmp_ge_f32_e64 s[14:15], s26, v3
	v_mul_f32_e32 v8, 0.5, v2
	s_nop 0
	v_cndmask_b32_e64 v2, 0, 1, s[14:15]
	s_cbranch_vccnz .LBB5_41
; %bb.39:                               ;   in Loop: Header=BB5_37 Depth=3
	v_cmp_gt_f32_e64 s[50:51], v3, -s26
	v_mov_b32_e32 v6, s26
	s_and_b64 s[14:15], s[14:15], s[50:51]
	v_cndmask_b32_e64 v3, v3, -v6, s[14:15]
	s_mov_b64 s[50:51], s[44:45]
	s_mov_b64 s[52:53], s[42:43]
	s_mov_b32 s86, s83
.LBB5_40:                               ;   Parent Loop BB5_4 Depth=1
                                        ;     Parent Loop BB5_32 Depth=2
                                        ;       Parent Loop BB5_37 Depth=3
                                        ; =>      This Inner Loop Header: Depth=4
	global_load_dword v6, v19, s[52:53]
	global_load_dword v7, v19, s[50:51]
	s_add_i32 s86, s86, -1
	v_mov_b32_e32 v9, s26
	s_waitcnt vmcnt(1)
	v_sub_f32_e32 v6, v6, v8
	s_waitcnt vmcnt(0)
	v_div_scale_f32 v23, s[14:15], v3, v3, v7
	v_rcp_f32_e32 v25, v23
	v_div_scale_f32 v24, vcc, v7, v3, v7
	v_fma_f32 v26, -v23, v25, 1.0
	v_fmac_f32_e32 v25, v26, v25
	v_mul_f32_e32 v26, v24, v25
	v_fma_f32 v27, -v23, v26, v24
	v_fmac_f32_e32 v26, v27, v25
	v_fma_f32 v23, -v23, v26, v24
	v_div_fmas_f32 v23, v23, v25, v26
	v_div_fixup_f32 v3, v23, v3, v7
	v_sub_f32_e32 v3, v6, v3
	v_cmp_ge_f32_e32 vcc, s26, v3
	v_cmp_gt_f32_e64 s[88:89], v3, -s26
	s_nop 0
	v_addc_co_u32_e64 v2, s[14:15], 0, v2, vcc
	s_and_b64 s[14:15], vcc, s[88:89]
	s_add_u32 s52, s52, 4
	s_addc_u32 s53, s53, 0
	s_add_u32 s50, s50, 4
	s_addc_u32 s51, s51, 0
	s_cmp_lg_u32 s86, 0
	v_cndmask_b32_e64 v3, v3, -v9, s[14:15]
	s_cbranch_scc1 .LBB5_40
.LBB5_41:                               ;   in Loop: Header=BB5_37 Depth=3
	s_waitcnt vmcnt(0)
	v_max_i32_e32 v2, v2, v4
	v_min_i32_e32 v3, v2, v5
	v_cmp_ne_u32_e32 vcc, v3, v4
	s_and_saveexec_b64 s[14:15], vcc
	s_xor_b64 s[14:15], exec, s[14:15]
	s_cbranch_execz .LBB5_47
; %bb.42:                               ;   in Loop: Header=BB5_37 Depth=3
	v_cmp_le_i32_e32 vcc, v5, v2
	s_and_saveexec_b64 s[50:51], vcc
	s_xor_b64 s[50:51], exec, s[50:51]
	s_cbranch_execz .LBB5_44
; %bb.43:                               ;   in Loop: Header=BB5_37 Depth=3
	v_mov_b32_e32 v11, v8
	v_mov_b32_e32 v2, v4
	ds_write_b32 v14, v19
	ds_write_b64 v15, v[10:11]
	ds_write_b64 v16, v[2:3]
                                        ; implicit-def: $vgpr10_vgpr11
                                        ; implicit-def: $vgpr8
.LBB5_44:                               ;   in Loop: Header=BB5_37 Depth=3
	s_andn2_saveexec_b64 s[50:51], s[50:51]
	s_cbranch_execz .LBB5_46
; %bb.45:                               ;   in Loop: Header=BB5_37 Depth=3
	v_mov_b32_e32 v6, v10
	v_mov_b32_e32 v7, v8
	;; [unrolled: 1-line block ×5, first 2 shown]
	ds_write_b32 v14, v20
	ds_write_b128 v15, v[6:9]
	ds_write_b128 v16, v[2:5]
.LBB5_46:                               ;   in Loop: Header=BB5_37 Depth=3
	s_or_b64 exec, exec, s[50:51]
                                        ; implicit-def: $vgpr8
                                        ; implicit-def: $vgpr10_vgpr11
.LBB5_47:                               ;   in Loop: Header=BB5_37 Depth=3
	s_andn2_saveexec_b64 s[14:15], s[14:15]
	s_cbranch_execz .LBB5_49
; %bb.48:                               ;   in Loop: Header=BB5_37 Depth=3
	v_mov_b32_e32 v9, v11
	ds_write_b32 v14, v19
	ds_write_b64 v15, v[8:9]
	ds_write_b64 v16, v[4:5]
.LBB5_49:                               ;   in Loop: Header=BB5_37 Depth=3
	s_or_b64 exec, exec, s[14:15]
.LBB5_50:                               ;   in Loop: Header=BB5_37 Depth=3
	s_or_b64 exec, exec, s[48:49]
	s_waitcnt lgkmcnt(0)
	s_barrier
	s_and_saveexec_b64 s[14:15], s[12:13]
	s_cbranch_execz .LBB5_64
; %bb.51:                               ;   in Loop: Header=BB5_37 Depth=3
	v_mov_b32_e32 v5, 0
	s_and_saveexec_b64 s[12:13], s[6:7]
	s_cbranch_execz .LBB5_61
; %bb.52:                               ;   in Loop: Header=BB5_37 Depth=3
	s_mov_b64 s[50:51], -1
	v_mov_b32_e32 v5, 0
	v_mov_b32_e32 v3, 0
	s_and_saveexec_b64 s[48:49], s[8:9]
	s_cbranch_execz .LBB5_56
; %bb.53:                               ;   in Loop: Header=BB5_37 Depth=3
	s_movk_i32 s52, 0x1000
	s_mov_b64 s[50:51], 0
	v_mov_b32_e32 v3, 0
	v_mov_b32_e32 v2, 0
	;; [unrolled: 1-line block ×5, first 2 shown]
.LBB5_54:                               ;   Parent Loop BB5_4 Depth=1
                                        ;     Parent Loop BB5_32 Depth=2
                                        ;       Parent Loop BB5_37 Depth=3
                                        ; =>      This Inner Loop Header: Depth=4
	v_mov_b32_e32 v7, s52
	ds_read_b128 v[8:11], v7
	v_add_u32_e32 v6, -4, v6
	s_add_i32 s52, s52, 16
	v_cmp_eq_u32_e32 vcc, 0, v6
	s_or_b64 s[50:51], vcc, s[50:51]
	s_waitcnt lgkmcnt(0)
	v_add_u32_e32 v3, v9, v3
	v_add_u32_e32 v2, v8, v2
	;; [unrolled: 1-line block ×4, first 2 shown]
	s_andn2_b64 exec, exec, s[50:51]
	s_cbranch_execnz .LBB5_54
; %bb.55:                               ;   in Loop: Header=BB5_37 Depth=3
	s_or_b64 exec, exec, s[50:51]
	v_add_u32_e32 v3, v5, v3
	v_add3_u32 v5, v4, v2, v3
	s_orn2_b64 s[50:51], s[10:11], exec
	v_mov_b32_e32 v3, v18
.LBB5_56:                               ;   in Loop: Header=BB5_37 Depth=3
	s_or_b64 exec, exec, s[48:49]
	s_and_saveexec_b64 s[48:49], s[50:51]
	s_cbranch_execz .LBB5_60
; %bb.57:                               ;   in Loop: Header=BB5_37 Depth=3
	v_sub_u32_e32 v2, v0, v3
	v_lshl_or_b32 v3, v3, 2, v13
	s_mov_b64 s[50:51], 0
.LBB5_58:                               ;   Parent Loop BB5_4 Depth=1
                                        ;     Parent Loop BB5_32 Depth=2
                                        ;       Parent Loop BB5_37 Depth=3
                                        ; =>      This Inner Loop Header: Depth=4
	ds_read_b32 v4, v3
	v_add_u32_e32 v2, -1, v2
	v_cmp_eq_u32_e32 vcc, 0, v2
	v_add_u32_e32 v3, 4, v3
	s_or_b64 s[50:51], vcc, s[50:51]
	s_waitcnt lgkmcnt(0)
	v_add_u32_e32 v5, v4, v5
	s_andn2_b64 exec, exec, s[50:51]
	s_cbranch_execnz .LBB5_58
; %bb.59:                               ;   in Loop: Header=BB5_37 Depth=3
	s_or_b64 exec, exec, s[50:51]
.LBB5_60:                               ;   in Loop: Header=BB5_37 Depth=3
	s_or_b64 exec, exec, s[48:49]
.LBB5_61:                               ;   in Loop: Header=BB5_37 Depth=3
	s_or_b64 exec, exec, s[12:13]
	ds_read_b32 v2, v19 offset:4608
	ds_read_b64 v[8:9], v15
	ds_read_b64 v[10:11], v16
	ds_read_b32 v4, v14
	s_waitcnt lgkmcnt(3)
	v_add3_u32 v2, v5, v0, v2
	v_lshl_add_u32 v2, v2, 1, s80
	v_ashrrev_i32_e32 v3, 31, v2
	v_lshlrev_b64 v[6:7], 2, v[2:3]
	v_lshl_add_u64 v[2:3], s[30:31], 0, v[6:7]
	v_lshl_add_u64 v[6:7], s[34:35], 0, v[6:7]
	s_waitcnt lgkmcnt(0)
	v_cmp_ne_u32_e32 vcc, 0, v4
	global_store_dwordx2 v[2:3], v[8:9], off
	global_store_dwordx2 v[6:7], v[10:11], off
	s_and_saveexec_b64 s[12:13], vcc
	s_cbranch_execz .LBB5_63
; %bb.62:                               ;   in Loop: Header=BB5_37 Depth=3
	ds_read_b64 v[8:9], v15 offset:8
	ds_read_b64 v[10:11], v16 offset:8
	s_waitcnt lgkmcnt(1)
	global_store_dwordx2 v[2:3], v[8:9], off offset:8
	s_waitcnt lgkmcnt(0)
	global_store_dwordx2 v[6:7], v[10:11], off offset:8
.LBB5_63:                               ;   in Loop: Header=BB5_37 Depth=3
	s_or_b64 exec, exec, s[12:13]
.LBB5_64:                               ;   in Loop: Header=BB5_37 Depth=3
	s_or_b64 exec, exec, s[14:15]
	s_sub_i32 s12, s79, s85
	s_min_i32 s14, s12, 0x80
	s_add_i32 s12, s14, -1
	v_cmp_eq_u32_e32 vcc, s12, v0
	s_barrier
	s_and_saveexec_b64 s[12:13], vcc
	s_cbranch_execz .LBB5_36
; %bb.65:                               ;   in Loop: Header=BB5_37 Depth=3
	ds_read_b32 v2, v14
	ds_read_b32 v3, v19 offset:4608
	v_add_u32_e32 v4, s14, v5
	s_waitcnt lgkmcnt(0)
	v_add3_u32 v2, v4, v2, v3
	ds_write_b32 v19, v2 offset:4608
	s_branch .LBB5_36
.LBB5_66:                               ;   in Loop: Header=BB5_32 Depth=2
	ds_read_b32 v2, v19 offset:4608
	s_waitcnt lgkmcnt(0)
	v_readfirstlane_b32 s79, v2
	s_and_saveexec_b64 s[12:13], s[4:5]
	s_cbranch_execz .LBB5_31
; %bb.67:                               ;   in Loop: Header=BB5_32 Depth=2
	ds_read_b64 v[2:3], v19
	s_waitcnt lgkmcnt(0)
	v_cmp_lt_f32_e64 vcc, |v2|, |v3|
	v_sub_f32_e32 v4, v3, v2
	s_nop 0
	v_cndmask_b32_e32 v2, v2, v3, vcc
	v_mul_f32_e64 v2, v17, |v2|
	v_cmp_lt_f32_e32 vcc, v21, v2
	s_nop 1
	v_cndmask_b32_e32 v2, v21, v2, vcc
	v_cmp_nlt_f32_e32 vcc, v4, v2
	s_cbranch_vccnz .LBB5_31
; %bb.68:                               ;   in Loop: Header=BB5_32 Depth=2
	ds_write_b8 v19, v20 offset:4613
	s_branch .LBB5_31
.LBB5_69:                               ;   in Loop: Header=BB5_4 Depth=1
                                        ; implicit-def: $sgpr78
                                        ; implicit-def: $sgpr80
                                        ; implicit-def: $sgpr3
                                        ; implicit-def: $sgpr79
                                        ; implicit-def: $vgpr5
	s_cbranch_execz .LBB5_3
	s_branch .LBB5_88
.LBB5_70:                               ;   in Loop: Header=BB5_4 Depth=1
	s_mov_b32 s80, s75
.LBB5_71:                               ;   in Loop: Header=BB5_4 Depth=1
	s_and_b64 s[40:41], s[4:5], s[48:49]
	s_and_saveexec_b64 s[14:15], s[40:41]
	s_cbranch_execz .LBB5_87
; %bb.72:                               ;   in Loop: Header=BB5_4 Depth=1
	s_cmp_lt_i32 s79, 1
	s_cbranch_scc1 .LBB5_84
; %bb.73:                               ;   in Loop: Header=BB5_4 Depth=1
	s_add_i32 s42, s2, 1
	s_not_b32 s43, s2
	s_and_b64 s[40:41], s[12:13], exec
	s_cselect_b32 s40, s42, s43
	s_mov_b32 s41, s40
	s_mov_b32 s42, s40
	;; [unrolled: 1-line block ×3, first 2 shown]
	v_mov_b64_e32 v[6:7], s[40:41]
	s_mov_b32 s44, 0
	v_mov_b32_e32 v10, s40
	v_mov_b64_e32 v[8:9], s[42:43]
	s_mov_b32 s45, 0
	s_branch .LBB5_75
.LBB5_74:                               ;   in Loop: Header=BB5_75 Depth=2
	s_add_i32 s44, s44, 1
	s_cmp_eq_u32 s44, s79
	s_cbranch_scc1 .LBB5_83
.LBB5_75:                               ;   Parent Loop BB5_4 Depth=1
                                        ; =>  This Loop Header: Depth=2
                                        ;       Child Loop BB5_78 Depth 3
                                        ;       Child Loop BB5_82 Depth 3
	s_lshl_b32 s40, s44, 1
	s_add_i32 s40, s40, s80
	s_ashr_i32 s41, s40, 31
	s_lshl_b64 s[40:41], s[40:41], 2
	s_add_u32 s42, s34, s40
	s_addc_u32 s43, s35, s41
	global_load_dwordx2 v[2:3], v19, s[42:43]
	s_waitcnt vmcnt(0)
	v_readfirstlane_b32 s42, v2
	v_readfirstlane_b32 s46, v3
	s_sub_i32 s47, s46, s42
	s_cmp_lt_i32 s47, 1
	s_cbranch_scc1 .LBB5_74
; %bb.76:                               ;   in Loop: Header=BB5_75 Depth=2
	s_add_u32 s40, s30, s40
	s_addc_u32 s41, s31, s41
	global_load_dwordx2 v[2:3], v19, s[40:41]
	s_cmp_lt_u32 s47, 16
	s_waitcnt vmcnt(0)
	v_add_f32_e32 v2, v2, v3
	v_mul_f32_e32 v2, 0.5, v2
	s_cbranch_scc1 .LBB5_80
; %bb.77:                               ;   in Loop: Header=BB5_75 Depth=2
	s_and_b32 s48, s47, 0x7ffffff0
	s_add_i32 s40, s45, s38
	s_mov_b32 s42, s48
.LBB5_78:                               ;   Parent Loop BB5_4 Depth=1
                                        ;     Parent Loop BB5_75 Depth=2
                                        ; =>    This Inner Loop Header: Depth=3
	s_ashr_i32 s41, s40, 31
	s_lshl_b64 s[50:51], s[40:41], 2
	s_add_u32 s52, s62, s50
	s_addc_u32 s53, s63, s51
	s_add_u32 s50, s64, s50
	s_addc_u32 s51, s65, s51
	s_add_i32 s40, s40, 16
	s_add_i32 s42, s42, -16
	v_mov_b32_e32 v3, v2
	v_mov_b32_e32 v4, v2
	;; [unrolled: 1-line block ×3, first 2 shown]
	s_cmp_lg_u32 s42, 0
	global_store_dwordx4 v19, v[2:5], s[52:53]
	global_store_dwordx4 v19, v[2:5], s[52:53] offset:16
	global_store_dwordx4 v19, v[2:5], s[52:53] offset:32
	;; [unrolled: 1-line block ×3, first 2 shown]
	global_store_dwordx4 v19, v[6:9], s[50:51]
	global_store_dwordx4 v19, v[6:9], s[50:51] offset:16
	global_store_dwordx4 v19, v[6:9], s[50:51] offset:32
	;; [unrolled: 1-line block ×3, first 2 shown]
	s_cbranch_scc1 .LBB5_78
; %bb.79:                               ;   in Loop: Header=BB5_75 Depth=2
	s_add_i32 s45, s45, s48
	s_cmp_lg_u32 s47, s48
	s_cselect_b64 s[40:41], -1, 0
	s_and_b64 vcc, exec, s[40:41]
	s_cbranch_vccz .LBB5_74
	s_branch .LBB5_81
.LBB5_80:                               ;   in Loop: Header=BB5_75 Depth=2
	s_mov_b32 s48, 0
	s_cbranch_execz .LBB5_74
.LBB5_81:                               ;   in Loop: Header=BB5_75 Depth=2
	s_ashr_i32 s41, s45, 31
	s_add_u32 s40, s38, s45
	s_addc_u32 s41, s39, s41
	s_lshl_b64 s[42:43], s[40:41], 2
	s_add_u32 s40, s62, s42
	s_addc_u32 s41, s63, s43
	s_add_u32 s42, s64, s42
	s_addc_u32 s43, s65, s43
.LBB5_82:                               ;   Parent Loop BB5_4 Depth=1
                                        ;     Parent Loop BB5_75 Depth=2
                                        ; =>    This Inner Loop Header: Depth=3
	s_add_i32 s45, s45, 1
	s_add_i32 s48, s48, 1
	global_store_dword v19, v2, s[40:41]
	global_store_dword v19, v10, s[42:43]
	s_add_u32 s40, s40, 4
	s_addc_u32 s41, s41, 0
	s_add_u32 s42, s42, 4
	s_addc_u32 s43, s43, 0
	s_cmp_ge_i32 s48, s47
	s_cbranch_scc0 .LBB5_82
	s_branch .LBB5_74
.LBB5_83:                               ;   in Loop: Header=BB5_4 Depth=1
	v_mov_b32_e32 v5, s46
.LBB5_84:                               ;   in Loop: Header=BB5_4 Depth=1
	s_xor_b64 s[12:13], s[12:13], -1
; %bb.85:                               ;   in Loop: Header=BB5_4 Depth=1
	s_and_b64 vcc, exec, s[12:13]
	s_cbranch_vccz .LBB5_87
; %bb.86:                               ;   in Loop: Header=BB5_4 Depth=1
	global_store_dword v19, v20, s[18:19]
.LBB5_87:                               ;   in Loop: Header=BB5_4 Depth=1
	s_or_b64 exec, exec, s[14:15]
	s_branch .LBB5_3
.LBB5_88:                               ;   in Loop: Header=BB5_4 Depth=1
	s_and_saveexec_b64 s[12:13], s[4:5]
	s_cbranch_execz .LBB5_2
; %bb.89:                               ;   in Loop: Header=BB5_4 Depth=1
	s_ashr_i32 s39, s38, 31
	s_lshl_b64 s[14:15], s[38:39], 2
	s_add_u32 s38, s58, s14
	s_addc_u32 s39, s59, s15
	global_load_dword v2, v19, s[38:39]
	s_andn2_b64 vcc, exec, s[36:37]
	s_mov_b64 s[38:39], -1
	s_cbranch_vccnz .LBB5_94
; %bb.90:                               ;   in Loop: Header=BB5_4 Depth=1
	global_load_dword v4, v19, s[16:17]
	s_waitcnt vmcnt(1)
	v_subrev_f32_e32 v3, s26, v2
	s_mov_b64 s[38:39], 0
	s_waitcnt vmcnt(0)
	v_cmp_lt_f32_e32 vcc, v4, v3
	v_cmp_nlt_f32_e64 s[40:41], v4, v3
	s_cbranch_vccz .LBB5_92
; %bb.91:                               ;   in Loop: Header=BB5_4 Depth=1
	global_load_dword v4, v19, s[16:17] offset:4
	s_mov_b64 s[38:39], -1
	s_waitcnt vmcnt(0)
	v_cmp_nge_f32_e64 s[40:41], v4, v3
.LBB5_92:                               ;   in Loop: Header=BB5_4 Depth=1
	s_andn2_b64 vcc, exec, s[40:41]
	s_cbranch_vccnz .LBB5_94
; %bb.93:                               ;   in Loop: Header=BB5_4 Depth=1
	s_add_u32 s38, s56, s28
	s_addc_u32 s39, s57, s29
	global_store_dword v19, v19, s[38:39]
	s_mov_b64 s[38:39], 0
.LBB5_94:                               ;   in Loop: Header=BB5_4 Depth=1
	s_and_b64 vcc, exec, s[38:39]
	s_cbranch_vccz .LBB5_2
; %bb.95:                               ;   in Loop: Header=BB5_4 Depth=1
	s_add_u32 s38, s62, s14
	s_addc_u32 s39, s63, s15
	s_add_u32 s28, s56, s28
	s_addc_u32 s29, s57, s29
	s_add_i32 s3, s2, 1
	s_add_u32 s14, s64, s14
	s_waitcnt vmcnt(0)
	global_store_dword v19, v2, s[38:39]
	s_addc_u32 s15, s65, s15
	v_mov_b32_e32 v2, s3
	global_store_dword v19, v20, s[28:29]
	global_store_dword v19, v2, s[14:15]
	s_branch .LBB5_2
.LBB5_96:
	s_endpgm
	.section	.rodata,"a",@progbits
	.p2align	6, 0x0
	.amdhsa_kernel _ZN9rocsolver6v33100L22stebz_bisection_kernelIfPfEEv15rocblas_erange_iT_T0_iiS5_iiPiPS4_lS6_lS6_lS6_S6_S7_S7_S7_S7_S6_S4_S4_
		.amdhsa_group_segment_fixed_size 4616
		.amdhsa_private_segment_fixed_size 0
		.amdhsa_kernarg_size 168
		.amdhsa_user_sgpr_count 2
		.amdhsa_user_sgpr_dispatch_ptr 0
		.amdhsa_user_sgpr_queue_ptr 0
		.amdhsa_user_sgpr_kernarg_segment_ptr 1
		.amdhsa_user_sgpr_dispatch_id 0
		.amdhsa_user_sgpr_kernarg_preload_length 0
		.amdhsa_user_sgpr_kernarg_preload_offset 0
		.amdhsa_user_sgpr_private_segment_size 0
		.amdhsa_uses_dynamic_stack 0
		.amdhsa_enable_private_segment 0
		.amdhsa_system_sgpr_workgroup_id_x 1
		.amdhsa_system_sgpr_workgroup_id_y 1
		.amdhsa_system_sgpr_workgroup_id_z 0
		.amdhsa_system_sgpr_workgroup_info 0
		.amdhsa_system_vgpr_workitem_id 0
		.amdhsa_next_free_vgpr 28
		.amdhsa_next_free_sgpr 90
		.amdhsa_accum_offset 28
		.amdhsa_reserve_vcc 1
		.amdhsa_float_round_mode_32 0
		.amdhsa_float_round_mode_16_64 0
		.amdhsa_float_denorm_mode_32 3
		.amdhsa_float_denorm_mode_16_64 3
		.amdhsa_dx10_clamp 1
		.amdhsa_ieee_mode 1
		.amdhsa_fp16_overflow 0
		.amdhsa_tg_split 0
		.amdhsa_exception_fp_ieee_invalid_op 0
		.amdhsa_exception_fp_denorm_src 0
		.amdhsa_exception_fp_ieee_div_zero 0
		.amdhsa_exception_fp_ieee_overflow 0
		.amdhsa_exception_fp_ieee_underflow 0
		.amdhsa_exception_fp_ieee_inexact 0
		.amdhsa_exception_int_div_zero 0
	.end_amdhsa_kernel
	.section	.text._ZN9rocsolver6v33100L22stebz_bisection_kernelIfPfEEv15rocblas_erange_iT_T0_iiS5_iiPiPS4_lS6_lS6_lS6_S6_S7_S7_S7_S7_S6_S4_S4_,"axG",@progbits,_ZN9rocsolver6v33100L22stebz_bisection_kernelIfPfEEv15rocblas_erange_iT_T0_iiS5_iiPiPS4_lS6_lS6_lS6_S6_S7_S7_S7_S7_S6_S4_S4_,comdat
.Lfunc_end5:
	.size	_ZN9rocsolver6v33100L22stebz_bisection_kernelIfPfEEv15rocblas_erange_iT_T0_iiS5_iiPiPS4_lS6_lS6_lS6_S6_S7_S7_S7_S7_S6_S4_S4_, .Lfunc_end5-_ZN9rocsolver6v33100L22stebz_bisection_kernelIfPfEEv15rocblas_erange_iT_T0_iiS5_iiPiPS4_lS6_lS6_lS6_S6_S7_S7_S7_S7_S6_S4_S4_
                                        ; -- End function
	.set _ZN9rocsolver6v33100L22stebz_bisection_kernelIfPfEEv15rocblas_erange_iT_T0_iiS5_iiPiPS4_lS6_lS6_lS6_S6_S7_S7_S7_S7_S6_S4_S4_.num_vgpr, 28
	.set _ZN9rocsolver6v33100L22stebz_bisection_kernelIfPfEEv15rocblas_erange_iT_T0_iiS5_iiPiPS4_lS6_lS6_lS6_S6_S7_S7_S7_S7_S6_S4_S4_.num_agpr, 0
	.set _ZN9rocsolver6v33100L22stebz_bisection_kernelIfPfEEv15rocblas_erange_iT_T0_iiS5_iiPiPS4_lS6_lS6_lS6_S6_S7_S7_S7_S7_S6_S4_S4_.numbered_sgpr, 90
	.set _ZN9rocsolver6v33100L22stebz_bisection_kernelIfPfEEv15rocblas_erange_iT_T0_iiS5_iiPiPS4_lS6_lS6_lS6_S6_S7_S7_S7_S7_S6_S4_S4_.num_named_barrier, 0
	.set _ZN9rocsolver6v33100L22stebz_bisection_kernelIfPfEEv15rocblas_erange_iT_T0_iiS5_iiPiPS4_lS6_lS6_lS6_S6_S7_S7_S7_S7_S6_S4_S4_.private_seg_size, 0
	.set _ZN9rocsolver6v33100L22stebz_bisection_kernelIfPfEEv15rocblas_erange_iT_T0_iiS5_iiPiPS4_lS6_lS6_lS6_S6_S7_S7_S7_S7_S6_S4_S4_.uses_vcc, 1
	.set _ZN9rocsolver6v33100L22stebz_bisection_kernelIfPfEEv15rocblas_erange_iT_T0_iiS5_iiPiPS4_lS6_lS6_lS6_S6_S7_S7_S7_S7_S6_S4_S4_.uses_flat_scratch, 0
	.set _ZN9rocsolver6v33100L22stebz_bisection_kernelIfPfEEv15rocblas_erange_iT_T0_iiS5_iiPiPS4_lS6_lS6_lS6_S6_S7_S7_S7_S7_S6_S4_S4_.has_dyn_sized_stack, 0
	.set _ZN9rocsolver6v33100L22stebz_bisection_kernelIfPfEEv15rocblas_erange_iT_T0_iiS5_iiPiPS4_lS6_lS6_lS6_S6_S7_S7_S7_S7_S6_S4_S4_.has_recursion, 0
	.set _ZN9rocsolver6v33100L22stebz_bisection_kernelIfPfEEv15rocblas_erange_iT_T0_iiS5_iiPiPS4_lS6_lS6_lS6_S6_S7_S7_S7_S7_S6_S4_S4_.has_indirect_call, 0
	.section	.AMDGPU.csdata,"",@progbits
; Kernel info:
; codeLenInByte = 4192
; TotalNumSgprs: 96
; NumVgprs: 28
; NumAgprs: 0
; TotalNumVgprs: 28
; ScratchSize: 0
; MemoryBound: 0
; FloatMode: 240
; IeeeMode: 1
; LDSByteSize: 4616 bytes/workgroup (compile time only)
; SGPRBlocks: 11
; VGPRBlocks: 3
; NumSGPRsForWavesPerEU: 96
; NumVGPRsForWavesPerEU: 28
; AccumOffset: 28
; Occupancy: 8
; WaveLimiterHint : 1
; COMPUTE_PGM_RSRC2:SCRATCH_EN: 0
; COMPUTE_PGM_RSRC2:USER_SGPR: 2
; COMPUTE_PGM_RSRC2:TRAP_HANDLER: 0
; COMPUTE_PGM_RSRC2:TGID_X_EN: 1
; COMPUTE_PGM_RSRC2:TGID_Y_EN: 1
; COMPUTE_PGM_RSRC2:TGID_Z_EN: 0
; COMPUTE_PGM_RSRC2:TIDIG_COMP_CNT: 0
; COMPUTE_PGM_RSRC3_GFX90A:ACCUM_OFFSET: 6
; COMPUTE_PGM_RSRC3_GFX90A:TG_SPLIT: 0
	.section	.text._ZN9rocsolver6v33100L22stebz_synthesis_kernelIfPfEEv15rocblas_erange_15rocblas_eorder_iiiT0_iiPiS6_PT_lS6_lS6_liS6_S8_S8_S8_S8_S6_S7_,"axG",@progbits,_ZN9rocsolver6v33100L22stebz_synthesis_kernelIfPfEEv15rocblas_erange_15rocblas_eorder_iiiT0_iiPiS6_PT_lS6_lS6_liS6_S8_S8_S8_S8_S6_S7_,comdat
	.globl	_ZN9rocsolver6v33100L22stebz_synthesis_kernelIfPfEEv15rocblas_erange_15rocblas_eorder_iiiT0_iiPiS6_PT_lS6_lS6_liS6_S8_S8_S8_S8_S6_S7_ ; -- Begin function _ZN9rocsolver6v33100L22stebz_synthesis_kernelIfPfEEv15rocblas_erange_15rocblas_eorder_iiiT0_iiPiS6_PT_lS6_lS6_liS6_S8_S8_S8_S8_S6_S7_
	.p2align	8
	.type	_ZN9rocsolver6v33100L22stebz_synthesis_kernelIfPfEEv15rocblas_erange_15rocblas_eorder_iiiT0_iiPiS6_PT_lS6_lS6_liS6_S8_S8_S8_S8_S6_S7_,@function
_ZN9rocsolver6v33100L22stebz_synthesis_kernelIfPfEEv15rocblas_erange_15rocblas_eorder_iiiT0_iiPiS6_PT_lS6_lS6_liS6_S8_S8_S8_S8_S6_S7_: ; @_ZN9rocsolver6v33100L22stebz_synthesis_kernelIfPfEEv15rocblas_erange_15rocblas_eorder_iiiT0_iiPiS6_PT_lS6_lS6_liS6_S8_S8_S8_S8_S6_S7_
; %bb.0:
	s_load_dword s3, s[0:1], 0xb4
	s_load_dword s4, s[0:1], 0x68
	s_waitcnt lgkmcnt(0)
	s_and_b32 s3, s3, 0xffff
	s_mul_i32 s2, s2, s3
	v_add_u32_e32 v4, s2, v0
	v_cmp_gt_i32_e32 vcc, s4, v4
	s_and_saveexec_b64 s[2:3], vcc
	s_cbranch_execz .LBB6_61
; %bb.1:
	s_load_dwordx16 s[4:19], s[0:1], 0x28
	v_ashrrev_i32_e32 v5, 31, v4
	s_waitcnt lgkmcnt(0)
	v_mov_b32_e32 v0, s6
	v_mov_b32_e32 v1, s7
	v_lshl_add_u64 v[0:1], v[4:5], 2, v[0:1]
	global_load_dword v39, v[0:1], off
	s_load_dwordx8 s[20:27], s[0:1], 0x70
	s_load_dwordx4 s[28:31], s[0:1], 0x0
	s_load_dword s33, s[0:1], 0x10
	v_mul_lo_u32 v0, s11, v4
	v_mul_lo_u32 v1, s10, v5
	v_mad_u64_u32 v[6:7], s[2:3], s10, v4, 0
	v_mul_lo_u32 v2, s15, v4
	v_mul_lo_u32 v3, s14, v5
	v_mad_u64_u32 v[16:17], s[2:3], s14, v4, 0
	;; [unrolled: 3-line block ×3, first 2 shown]
	s_waitcnt lgkmcnt(0)
	v_mul_lo_u32 v18, v4, s30
	v_mov_b32_e32 v8, s16
	v_mov_b32_e32 v9, s17
	;; [unrolled: 1-line block ×4, first 2 shown]
	v_add3_u32 v7, v7, v1, v0
	v_add3_u32 v17, v17, v3, v2
	;; [unrolled: 1-line block ×3, first 2 shown]
	v_ashrrev_i32_e32 v19, 31, v18
	s_cmpk_eq_i32 s28, 0xe9
	v_lshl_add_u64 v[0:1], v[6:7], 2, s[8:9]
	v_lshl_add_u64 v[2:3], v[16:17], 2, s[12:13]
	v_lshl_add_u64 v[14:15], v[12:13], 2, v[8:9]
	v_lshl_add_u64 v[12:13], v[18:19], 2, v[10:11]
	s_waitcnt vmcnt(0)
	v_cmp_lt_i32_e32 vcc, 0, v39
	v_cmp_gt_i32_e64 s[2:3], 1, v39
	s_cbranch_scc1 .LBB6_12
; %bb.2:
	v_mov_b32_e32 v10, 0
	s_and_saveexec_b64 s[6:7], vcc
	s_cbranch_execz .LBB6_14
; %bb.3:
	s_mov_b32 s15, 0
	s_mov_b64 s[10:11], 0
	v_mov_b32_e32 v10, 0
	s_mov_b32 s14, s15
	s_branch .LBB6_5
.LBB6_4:                                ;   in Loop: Header=BB6_5 Depth=1
	s_or_b64 exec, exec, s[16:17]
	s_add_i32 s14, s14, 1
	v_cmp_eq_u32_e32 vcc, s14, v39
	s_or_b64 s[10:11], vcc, s[10:11]
	s_andn2_b64 exec, exec, s[10:11]
	s_cbranch_execz .LBB6_13
.LBB6_5:                                ; =>This Loop Header: Depth=1
                                        ;     Child Loop BB6_10 Depth 2
	s_cmp_eq_u32 s14, 0
	s_cbranch_scc1 .LBB6_7
; %bb.6:                                ;   in Loop: Header=BB6_5 Depth=1
	v_lshl_add_u64 v[8:9], s[14:15], 2, v[14:15]
	global_load_dword v18, v[8:9], off offset:-4
	s_mov_b64 s[16:17], s[14:15]
	s_branch .LBB6_8
.LBB6_7:                                ;   in Loop: Header=BB6_5 Depth=1
	v_mov_b32_e32 v18, 0
	s_mov_b64 s[16:17], 0
.LBB6_8:                                ;   in Loop: Header=BB6_5 Depth=1
	v_lshl_add_u64 v[8:9], s[16:17], 2, v[12:13]
	global_load_dword v11, v[8:9], off
	s_waitcnt vmcnt(0)
	v_cmp_lt_i32_e32 vcc, 0, v11
	s_and_saveexec_b64 s[16:17], vcc
	s_cbranch_execz .LBB6_4
; %bb.9:                                ;   in Loop: Header=BB6_5 Depth=1
	v_ashrrev_i32_e32 v19, 31, v18
	v_ashrrev_i32_e32 v11, 31, v10
	v_lshlrev_b64 v[18:19], 2, v[18:19]
	v_lshlrev_b64 v[20:21], 2, v[10:11]
	s_mov_b32 s20, 0
	s_mov_b64 s[18:19], 0
	v_mov_b64_e32 v[22:23], v[2:3]
	v_mov_b64_e32 v[24:25], v[0:1]
.LBB6_10:                               ;   Parent Loop BB6_5 Depth=1
                                        ; =>  This Inner Loop Header: Depth=2
	v_lshl_add_u64 v[26:27], v[22:23], 0, v[18:19]
	global_load_dword v11, v[26:27], off
	v_lshl_add_u64 v[26:27], v[22:23], 0, v[20:21]
	s_add_i32 s20, s20, 1
	v_lshl_add_u64 v[22:23], v[22:23], 0, 4
	s_waitcnt vmcnt(0)
	global_store_dword v[26:27], v11, off
	global_load_dword v28, v[8:9], off
	v_lshl_add_u64 v[26:27], v[24:25], 0, v[18:19]
	global_load_dword v29, v[26:27], off
	v_lshl_add_u64 v[26:27], v[24:25], 0, v[20:21]
	v_lshl_add_u64 v[24:25], v[24:25], 0, 4
	v_add_u32_e32 v11, s20, v10
	s_waitcnt vmcnt(1)
	v_cmp_ge_i32_e32 vcc, s20, v28
	s_or_b64 s[18:19], vcc, s[18:19]
	s_waitcnt vmcnt(0)
	global_store_dword v[26:27], v29, off
	s_andn2_b64 exec, exec, s[18:19]
	s_cbranch_execnz .LBB6_10
; %bb.11:                               ;   in Loop: Header=BB6_5 Depth=1
	s_or_b64 exec, exec, s[18:19]
	v_mov_b32_e32 v10, v11
	s_branch .LBB6_4
.LBB6_12:
                                        ; implicit-def: $vgpr10
	s_branch .LBB6_15
.LBB6_13:
	s_or_b64 exec, exec, s[10:11]
.LBB6_14:
	s_or_b64 exec, exec, s[6:7]
	s_cbranch_execnz .LBB6_53
.LBB6_15:
	v_mov_b32_e32 v8, s22
	v_mov_b32_e32 v9, s23
	v_lshl_add_u64 v[8:9], v[4:5], 2, v[8:9]
	global_load_dword v38, v[8:9], off
	s_load_dwordx4 s[16:19], s[0:1], 0x90
	v_lshlrev_b32_e32 v18, 1, v4
	v_mul_lo_u32 v10, v18, s30
	v_ashrrev_i32_e32 v11, 31, v10
                                        ; implicit-def: $sgpr6_sgpr7
	s_and_saveexec_b64 s[10:11], s[2:3]
	s_xor_b64 s[2:3], exec, s[10:11]
; %bb.16:
	s_ashr_i32 s7, s30, 31
	s_mov_b32 s6, s30
                                        ; implicit-def: $vgpr39
                                        ; implicit-def: $vgpr12_vgpr13
                                        ; implicit-def: $vgpr14_vgpr15
                                        ; implicit-def: $vgpr16_vgpr17
; %bb.17:
	s_or_saveexec_b64 s[2:3], s[2:3]
	v_mov_b32_e32 v8, 0
	v_mov_b64_e32 v[22:23], s[6:7]
	v_lshlrev_b64 v[20:21], 2, v[10:11]
	s_xor_b64 exec, exec, s[2:3]
	s_cbranch_execz .LBB6_28
; %bb.18:
	s_ashr_i32 s7, s30, 31
	s_mov_b32 s6, s30
	s_mov_b32 s21, 0
	v_lshl_add_u64 v[22:23], v[6:7], 2, s[8:9]
	v_lshl_add_u64 v[16:17], v[16:17], 2, s[12:13]
	s_lshl_b64 s[10:11], s[6:7], 2
	s_waitcnt lgkmcnt(0)
	v_lshl_add_u64 v[24:25], s[16:17], 0, v[20:21]
	v_lshl_add_u64 v[26:27], s[18:19], 0, v[20:21]
	s_mov_b64 s[14:15], 0
	v_mov_b32_e32 v8, 0
	s_mov_b32 s20, s21
	s_branch .LBB6_20
.LBB6_19:                               ;   in Loop: Header=BB6_20 Depth=1
	s_or_b64 exec, exec, s[22:23]
	s_add_i32 s20, s20, 1
	v_cmp_eq_u32_e32 vcc, s20, v39
	s_or_b64 s[14:15], vcc, s[14:15]
	s_andn2_b64 exec, exec, s[14:15]
	s_cbranch_execz .LBB6_27
.LBB6_20:                               ; =>This Loop Header: Depth=1
                                        ;     Child Loop BB6_25 Depth 2
	s_cmp_eq_u32 s20, 0
	s_cbranch_scc1 .LBB6_22
; %bb.21:                               ;   in Loop: Header=BB6_20 Depth=1
	v_lshl_add_u64 v[28:29], s[20:21], 2, v[14:15]
	global_load_dword v30, v[28:29], off offset:-4
	s_mov_b64 s[22:23], s[20:21]
	s_branch .LBB6_23
.LBB6_22:                               ;   in Loop: Header=BB6_20 Depth=1
	v_mov_b32_e32 v30, 0
	s_mov_b64 s[22:23], 0
.LBB6_23:                               ;   in Loop: Header=BB6_20 Depth=1
	v_lshl_add_u64 v[28:29], s[22:23], 2, v[12:13]
	global_load_dword v9, v[28:29], off
	s_waitcnt vmcnt(0)
	v_cmp_lt_i32_e32 vcc, 0, v9
	s_and_saveexec_b64 s[22:23], vcc
	s_cbranch_execz .LBB6_19
; %bb.24:                               ;   in Loop: Header=BB6_20 Depth=1
	v_ashrrev_i32_e32 v31, 31, v30
	v_ashrrev_i32_e32 v9, 31, v8
	v_lshlrev_b64 v[32:33], 2, v[30:31]
	v_lshlrev_b64 v[36:37], 2, v[8:9]
	v_lshl_add_u64 v[30:31], v[22:23], 0, v[32:33]
	v_lshl_add_u64 v[32:33], v[16:17], 0, v[32:33]
	;; [unrolled: 1-line block ×4, first 2 shown]
	s_mov_b32 s28, 0
	s_mov_b64 s[34:35], 0
.LBB6_25:                               ;   Parent Loop BB6_20 Depth=1
                                        ; =>  This Inner Loop Header: Depth=2
	global_load_dword v9, v[32:33], off
	s_add_i32 s28, s28, 1
	v_lshl_add_u64 v[40:41], v[34:35], 0, s[10:11]
	v_lshl_add_u64 v[32:33], v[32:33], 0, 4
	s_waitcnt vmcnt(0)
	global_store_dword v[36:37], v9, off
	global_load_dword v19, v[28:29], off
	global_load_dword v42, v[30:31], off
	v_lshl_add_u64 v[30:31], v[30:31], 0, 4
	v_add_u32_e32 v9, s28, v8
	v_lshl_add_u64 v[36:37], v[36:37], 0, 4
	s_waitcnt vmcnt(0)
	global_store_dword v[34:35], v42, off
	global_store_dword v[40:41], v42, off
	v_cmp_ge_i32_e32 vcc, s28, v19
	v_lshl_add_u64 v[34:35], v[34:35], 0, 4
	s_or_b64 s[34:35], vcc, s[34:35]
	s_andn2_b64 exec, exec, s[34:35]
	s_cbranch_execnz .LBB6_25
; %bb.26:                               ;   in Loop: Header=BB6_20 Depth=1
	s_or_b64 exec, exec, s[34:35]
	v_mov_b32_e32 v8, v9
	s_branch .LBB6_19
.LBB6_27:
	s_or_b64 exec, exec, s[14:15]
	v_mov_b64_e32 v[22:23], s[6:7]
.LBB6_28:
	s_or_b64 exec, exec, s[2:3]
; %bb.29:
	s_waitcnt lgkmcnt(0)
	v_lshl_add_u64 v[12:13], s[16:17], 0, v[20:21]
	v_lshl_add_u64 v[14:15], s[18:19], 0, v[20:21]
	;; [unrolled: 1-line block ×3, first 2 shown]
	s_mov_b32 s6, 1
	v_cmp_lt_i32_e32 vcc, 1, v8
	s_and_saveexec_b64 s[10:11], vcc
	s_cbranch_execz .LBB6_37
; %bb.30:
	v_lshlrev_b64 v[22:23], 2, v[22:23]
	s_cmp_lg_u64 s[18:19], 0
	v_lshl_add_u64 v[10:11], v[10:11], 2, v[22:23]
	s_cselect_b64 s[2:3], -1, 0
	v_lshl_add_u64 v[10:11], s[16:17], 0, v[10:11]
	v_cndmask_b32_e64 v9, 0, 1, s[2:3]
	v_lshl_add_u64 v[20:21], v[14:15], 0, v[22:23]
	s_mov_b64 s[14:15], 0
	v_lshl_add_u64 v[10:11], v[10:11], 0, 4
	v_cmp_ne_u32_e64 s[2:3], 1, v9
	s_branch .LBB6_32
.LBB6_31:                               ;   in Loop: Header=BB6_32 Depth=1
	s_or_b64 exec, exec, s[16:17]
	s_add_i32 s6, s6, 1
	v_cmp_eq_u32_e32 vcc, s6, v8
	s_or_b64 s[14:15], vcc, s[14:15]
	v_lshl_add_u64 v[10:11], v[10:11], 0, 4
	s_andn2_b64 exec, exec, s[14:15]
	s_cbranch_execz .LBB6_37
.LBB6_32:                               ; =>This Loop Header: Depth=1
                                        ;     Child Loop BB6_33 Depth 2
	s_ashr_i32 s7, s6, 31
	v_lshl_add_u64 v[24:25], s[6:7], 2, v[16:17]
	global_load_dword v9, v[24:25], off offset:-4
	s_add_i32 s18, s6, -1
	v_mov_b32_e32 v22, s18
	s_mov_b64 s[16:17], 0
	v_mov_b64_e32 v[26:27], v[10:11]
	s_mov_b32 s19, s6
	s_waitcnt vmcnt(0)
	v_mov_b32_e32 v19, v9
.LBB6_33:                               ;   Parent Loop BB6_32 Depth=1
                                        ; =>  This Inner Loop Header: Depth=2
	global_load_dword v23, v[26:27], off
	v_mov_b32_e32 v28, s19
	s_add_i32 s19, s19, 1
	v_cmp_eq_u32_e32 vcc, s19, v8
	s_or_b64 s[16:17], vcc, s[16:17]
	v_lshl_add_u64 v[26:27], v[26:27], 0, 4
	s_waitcnt vmcnt(0)
	v_cmp_lt_f32_e32 vcc, v23, v19
	s_nop 1
	v_cndmask_b32_e32 v19, v19, v23, vcc
	v_cndmask_b32_e32 v22, v22, v28, vcc
	s_andn2_b64 exec, exec, s[16:17]
	s_cbranch_execnz .LBB6_33
; %bb.34:                               ;   in Loop: Header=BB6_32 Depth=1
	s_or_b64 exec, exec, s[16:17]
	v_cmp_ne_u32_e32 vcc, s18, v22
	s_and_saveexec_b64 s[16:17], vcc
	s_cbranch_execz .LBB6_31
; %bb.35:                               ;   in Loop: Header=BB6_32 Depth=1
	v_ashrrev_i32_e32 v23, 31, v22
	v_lshl_add_u64 v[26:27], v[22:23], 2, v[16:17]
	s_and_b64 vcc, exec, s[2:3]
	global_store_dword v[26:27], v9, off
	global_store_dword v[24:25], v19, off offset:-4
	s_cbranch_vccnz .LBB6_31
; %bb.36:                               ;   in Loop: Header=BB6_32 Depth=1
	v_lshl_add_u64 v[24:25], s[6:7], 2, v[20:21]
	v_lshl_add_u64 v[22:23], v[22:23], 2, v[20:21]
	global_load_dword v9, v[24:25], off offset:-4
	global_load_dword v19, v[22:23], off
	s_waitcnt vmcnt(1)
	global_store_dword v[22:23], v9, off
	s_waitcnt vmcnt(1)
	global_store_dword v[24:25], v19, off offset:-4
	s_branch .LBB6_31
.LBB6_37:
	s_or_b64 exec, exec, s[10:11]
	v_mov_b32_e32 v10, 0
	v_cmp_lt_i32_e32 vcc, 0, v8
	s_and_saveexec_b64 s[6:7], vcc
	s_cbranch_execz .LBB6_52
; %bb.38:
	s_load_dwordx4 s[16:19], s[0:1], 0x18
	v_mov_b32_e32 v10, s24
	s_add_i32 s24, s30, -1
	v_mul_lo_u32 v22, v4, s24
	v_mov_b32_e32 v11, s25
	s_waitcnt lgkmcnt(0)
	s_ashr_i32 s1, s18, 31
	s_mov_b32 s0, s18
	v_mad_i64_i32 v[20:21], s[2:3], v4, s19, 0
	v_lshlrev_b64 v[26:27], 2, v[20:21]
	s_lshl_b64 s[0:1], s[0:1], 2
	v_lshl_add_u64 v[20:21], s[16:17], 0, v[26:27]
	s_cmp_gt_i32 s30, 1
	v_lshl_add_u64 v[20:21], v[20:21], 0, s[0:1]
	s_cselect_b64 s[2:3], -1, 0
	s_add_u32 s0, s16, s0
	v_ashrrev_i32_e32 v23, 31, v22
	s_addc_u32 s1, s17, s1
	v_mov_b32_e32 v24, s26
	v_mov_b32_e32 v25, s27
	v_lshl_add_u64 v[22:23], v[22:23], 2, v[10:11]
	v_ashrrev_i32_e32 v19, 31, v18
	v_lshl_add_u64 v[10:11], s[0:1], 0, v[26:27]
	v_lshl_add_u64 v[18:19], v[18:19], 2, v[24:25]
	;; [unrolled: 1-line block ×3, first 2 shown]
	s_mov_b32 s15, 0
	v_cndmask_b32_e64 v11, 0, 1, s[2:3]
	v_add_u32_e32 v9, -1, v8
	s_mov_b64 s[10:11], 0
	v_mov_b32_e32 v10, 0
	v_cmp_ne_u32_e64 s[0:1], 1, v11
	s_mov_b32 s14, s15
	s_branch .LBB6_41
.LBB6_39:                               ;   in Loop: Header=BB6_41 Depth=1
	s_or_b64 exec, exec, s[2:3]
.LBB6_40:                               ;   in Loop: Header=BB6_41 Depth=1
	s_or_b64 exec, exec, s[16:17]
	s_add_i32 s14, s14, 1
	v_cmp_eq_u32_e32 vcc, s14, v8
	s_or_b64 s[10:11], vcc, s[10:11]
	s_andn2_b64 exec, exec, s[10:11]
	s_cbranch_execz .LBB6_51
.LBB6_41:                               ; =>This Loop Header: Depth=1
                                        ;     Child Loop BB6_43 Depth 2
                                        ;     Child Loop BB6_48 Depth 2
	v_lshl_add_u64 v[26:27], s[14:15], 2, v[12:13]
	global_load_dword v30, v[26:27], off
	s_mov_b64 s[16:17], 0
	v_mov_b64_e32 v[28:29], v[16:17]
	s_mov_b32 s25, s15
                                        ; implicit-def: $sgpr2_sgpr3
                                        ; implicit-def: $sgpr20_sgpr21
                                        ; implicit-def: $sgpr18_sgpr19
	s_branch .LBB6_43
.LBB6_42:                               ;   in Loop: Header=BB6_43 Depth=2
	s_or_b64 exec, exec, s[22:23]
	s_and_b64 s[22:23], exec, s[20:21]
	s_or_b64 s[16:17], s[22:23], s[16:17]
	s_andn2_b64 s[2:3], s[2:3], exec
	s_and_b64 s[22:23], s[18:19], exec
	v_mov_b32_e32 v31, s25
	s_or_b64 s[2:3], s[2:3], s[22:23]
	s_mov_b32 s25, s26
	s_andn2_b64 exec, exec, s[16:17]
	s_cbranch_execz .LBB6_45
.LBB6_43:                               ;   Parent Loop BB6_41 Depth=1
                                        ; =>  This Inner Loop Header: Depth=2
	global_load_dword v11, v[28:29], off
	v_mov_b64_e32 v[26:27], v[28:29]
	s_or_b64 s[18:19], s[18:19], exec
	s_or_b64 s[20:21], s[20:21], exec
                                        ; implicit-def: $sgpr26
                                        ; implicit-def: $vgpr28_vgpr29
	s_waitcnt vmcnt(0)
	v_cmp_neq_f32_e32 vcc, v30, v11
	s_and_saveexec_b64 s[22:23], vcc
	s_cbranch_execz .LBB6_42
; %bb.44:                               ;   in Loop: Header=BB6_43 Depth=2
	s_add_i32 s26, s25, 1
	v_cmp_eq_u32_e32 vcc, s26, v8
	s_andn2_b64 s[20:21], s[20:21], exec
	s_and_b64 s[34:35], vcc, exec
	v_lshl_add_u64 v[28:29], v[26:27], 0, 4
	s_andn2_b64 s[18:19], s[18:19], exec
	s_or_b64 s[20:21], s[20:21], s[34:35]
	s_branch .LBB6_42
.LBB6_45:                               ;   in Loop: Header=BB6_41 Depth=1
	s_or_b64 exec, exec, s[16:17]
	s_and_saveexec_b64 s[16:17], s[2:3]
	s_xor_b64 s[16:17], exec, s[16:17]
	s_cbranch_execz .LBB6_40
; %bb.46:                               ;   in Loop: Header=BB6_41 Depth=1
	v_cmp_eq_u32_e32 vcc, v31, v9
	s_nop 1
	v_cndmask_b32_e32 v27, v27, v19, vcc
	v_cndmask_b32_e32 v26, v26, v18, vcc
	global_load_dword v28, v[26:27], off offset:4
	global_load_dword v29, v[20:21], off
	s_and_b64 vcc, exec, s[0:1]
	s_waitcnt vmcnt(1)
	v_sub_f32_e32 v11, v28, v11
	v_fma_f32 v31, 0.5, v11, v30
	s_waitcnt vmcnt(0)
	v_sub_f32_e32 v26, v29, v31
	v_cmp_le_f32_e64 s[2:3], v26, v38
	s_nop 1
	v_cndmask_b32_e64 v11, 0, 1, s[2:3]
	s_cbranch_vccnz .LBB6_49
; %bb.47:                               ;   in Loop: Header=BB6_41 Depth=1
	v_cmp_gt_f32_e64 s[18:19], v26, -v38
	s_and_b64 s[2:3], s[2:3], s[18:19]
	v_cndmask_b32_e64 v32, v26, -v38, s[2:3]
	v_mov_b64_e32 v[26:27], v[22:23]
	v_mov_b64_e32 v[28:29], v[24:25]
	s_mov_b32 s18, s24
.LBB6_48:                               ;   Parent Loop BB6_41 Depth=1
                                        ; =>  This Inner Loop Header: Depth=2
	global_load_dword v33, v[26:27], off
	global_load_dword v34, v[28:29], off
	s_add_i32 s18, s18, -1
	v_lshl_add_u64 v[28:29], v[28:29], 0, 4
	v_lshl_add_u64 v[26:27], v[26:27], 0, 4
	s_waitcnt vmcnt(1)
	v_div_scale_f32 v35, s[2:3], v32, v32, v33
	v_rcp_f32_e32 v37, v35
	v_div_scale_f32 v36, vcc, v33, v32, v33
	s_waitcnt vmcnt(0)
	v_sub_f32_e32 v34, v34, v31
	v_fma_f32 v39, -v35, v37, 1.0
	v_fmac_f32_e32 v37, v39, v37
	v_mul_f32_e32 v39, v36, v37
	v_fma_f32 v40, -v35, v39, v36
	v_fmac_f32_e32 v39, v40, v37
	v_fma_f32 v35, -v35, v39, v36
	v_div_fmas_f32 v35, v35, v37, v39
	v_div_fixup_f32 v32, v35, v32, v33
	v_sub_f32_e32 v32, v34, v32
	v_cmp_le_f32_e32 vcc, v32, v38
	v_cmp_gt_f32_e64 s[20:21], v32, -v38
	s_nop 0
	v_addc_co_u32_e64 v11, s[2:3], 0, v11, vcc
	s_and_b64 s[2:3], vcc, s[20:21]
	s_cmp_lg_u32 s18, 0
	v_cndmask_b32_e64 v32, v32, -v38, s[2:3]
	s_cbranch_scc1 .LBB6_48
.LBB6_49:                               ;   in Loop: Header=BB6_41 Depth=1
	v_cmp_le_i32_e32 vcc, s31, v11
	v_cmp_ge_i32_e64 s[2:3], s33, v11
	s_and_b64 s[18:19], vcc, s[2:3]
	s_and_saveexec_b64 s[2:3], s[18:19]
	s_cbranch_execz .LBB6_39
; %bb.50:                               ;   in Loop: Header=BB6_41 Depth=1
	v_lshl_add_u64 v[26:27], s[14:15], 2, v[14:15]
	global_load_dword v31, v[26:27], off
	v_ashrrev_i32_e32 v11, 31, v10
	v_lshlrev_b64 v[26:27], 2, v[10:11]
	v_lshl_add_u64 v[28:29], v[0:1], 0, v[26:27]
	v_add_u32_e32 v10, 1, v10
	v_lshl_add_u64 v[26:27], v[2:3], 0, v[26:27]
	global_store_dword v[28:29], v30, off
	s_waitcnt vmcnt(1)
	global_store_dword v[26:27], v31, off
	s_branch .LBB6_39
.LBB6_51:
	s_or_b64 exec, exec, s[10:11]
.LBB6_52:
	s_or_b64 exec, exec, s[6:7]
.LBB6_53:
	s_cmpk_eq_i32 s29, 0xf2
	v_mov_b32_e32 v8, s4
	v_mov_b32_e32 v9, s5
	s_cselect_b64 s[0:1], -1, 0
	v_cmp_lt_i32_e32 vcc, 1, v10
	v_lshl_add_u64 v[4:5], v[4:5], 2, v[8:9]
	s_mov_b32 s2, 1
	s_and_b64 s[0:1], s[0:1], vcc
	global_store_dword v[4:5], v10, off
	s_and_b64 exec, exec, s[0:1]
	s_cbranch_execz .LBB6_61
; %bb.54:
	s_cmp_lg_u64 s[12:13], 0
	s_cselect_b64 s[0:1], -1, 0
	v_lshl_add_u64 v[4:5], v[6:7], 2, s[8:9]
	v_cndmask_b32_e64 v6, 0, 1, s[0:1]
	s_mov_b64 s[4:5], 0
	v_lshl_add_u64 v[4:5], v[4:5], 0, 4
	v_cmp_ne_u32_e64 s[0:1], 1, v6
	s_branch .LBB6_56
.LBB6_55:                               ;   in Loop: Header=BB6_56 Depth=1
	s_or_b64 exec, exec, s[6:7]
	s_add_i32 s2, s2, 1
	v_cmp_eq_u32_e32 vcc, s2, v10
	s_or_b64 s[4:5], vcc, s[4:5]
	v_lshl_add_u64 v[4:5], v[4:5], 0, 4
	s_andn2_b64 exec, exec, s[4:5]
	s_cbranch_execz .LBB6_61
.LBB6_56:                               ; =>This Loop Header: Depth=1
                                        ;     Child Loop BB6_57 Depth 2
	s_ashr_i32 s3, s2, 31
	v_lshl_add_u64 v[8:9], s[2:3], 2, v[0:1]
	global_load_dword v11, v[8:9], off offset:-4
	s_add_i32 s8, s2, -1
	v_mov_b32_e32 v6, s8
	s_mov_b64 s[6:7], 0
	v_mov_b64_e32 v[12:13], v[4:5]
	s_mov_b32 s9, s2
	s_waitcnt vmcnt(0)
	v_mov_b32_e32 v14, v11
.LBB6_57:                               ;   Parent Loop BB6_56 Depth=1
                                        ; =>  This Inner Loop Header: Depth=2
	global_load_dword v7, v[12:13], off
	v_mov_b32_e32 v15, s9
	s_add_i32 s9, s9, 1
	v_cmp_eq_u32_e32 vcc, s9, v10
	s_or_b64 s[6:7], vcc, s[6:7]
	v_lshl_add_u64 v[12:13], v[12:13], 0, 4
	s_waitcnt vmcnt(0)
	v_cmp_lt_f32_e32 vcc, v7, v14
	s_nop 1
	v_cndmask_b32_e32 v14, v14, v7, vcc
	v_cndmask_b32_e32 v6, v6, v15, vcc
	s_andn2_b64 exec, exec, s[6:7]
	s_cbranch_execnz .LBB6_57
; %bb.58:                               ;   in Loop: Header=BB6_56 Depth=1
	s_or_b64 exec, exec, s[6:7]
	v_cmp_ne_u32_e32 vcc, s8, v6
	s_and_saveexec_b64 s[6:7], vcc
	s_cbranch_execz .LBB6_55
; %bb.59:                               ;   in Loop: Header=BB6_56 Depth=1
	v_ashrrev_i32_e32 v7, 31, v6
	v_lshl_add_u64 v[12:13], v[6:7], 2, v[0:1]
	s_and_b64 vcc, exec, s[0:1]
	global_store_dword v[12:13], v11, off
	global_store_dword v[8:9], v14, off offset:-4
	s_cbranch_vccnz .LBB6_55
; %bb.60:                               ;   in Loop: Header=BB6_56 Depth=1
	v_lshl_add_u64 v[8:9], s[2:3], 2, v[2:3]
	v_lshl_add_u64 v[6:7], v[6:7], 2, v[2:3]
	global_load_dword v11, v[8:9], off offset:-4
	global_load_dword v12, v[6:7], off
	s_waitcnt vmcnt(1)
	global_store_dword v[6:7], v11, off
	s_waitcnt vmcnt(1)
	global_store_dword v[8:9], v12, off offset:-4
	s_branch .LBB6_55
.LBB6_61:
	s_endpgm
	.section	.rodata,"a",@progbits
	.p2align	6, 0x0
	.amdhsa_kernel _ZN9rocsolver6v33100L22stebz_synthesis_kernelIfPfEEv15rocblas_erange_15rocblas_eorder_iiiT0_iiPiS6_PT_lS6_lS6_liS6_S8_S8_S8_S8_S6_S7_
		.amdhsa_group_segment_fixed_size 0
		.amdhsa_private_segment_fixed_size 0
		.amdhsa_kernarg_size 424
		.amdhsa_user_sgpr_count 2
		.amdhsa_user_sgpr_dispatch_ptr 0
		.amdhsa_user_sgpr_queue_ptr 0
		.amdhsa_user_sgpr_kernarg_segment_ptr 1
		.amdhsa_user_sgpr_dispatch_id 0
		.amdhsa_user_sgpr_kernarg_preload_length 0
		.amdhsa_user_sgpr_kernarg_preload_offset 0
		.amdhsa_user_sgpr_private_segment_size 0
		.amdhsa_uses_dynamic_stack 0
		.amdhsa_enable_private_segment 0
		.amdhsa_system_sgpr_workgroup_id_x 1
		.amdhsa_system_sgpr_workgroup_id_y 0
		.amdhsa_system_sgpr_workgroup_id_z 0
		.amdhsa_system_sgpr_workgroup_info 0
		.amdhsa_system_vgpr_workitem_id 0
		.amdhsa_next_free_vgpr 43
		.amdhsa_next_free_sgpr 36
		.amdhsa_accum_offset 44
		.amdhsa_reserve_vcc 1
		.amdhsa_float_round_mode_32 0
		.amdhsa_float_round_mode_16_64 0
		.amdhsa_float_denorm_mode_32 3
		.amdhsa_float_denorm_mode_16_64 3
		.amdhsa_dx10_clamp 1
		.amdhsa_ieee_mode 1
		.amdhsa_fp16_overflow 0
		.amdhsa_tg_split 0
		.amdhsa_exception_fp_ieee_invalid_op 0
		.amdhsa_exception_fp_denorm_src 0
		.amdhsa_exception_fp_ieee_div_zero 0
		.amdhsa_exception_fp_ieee_overflow 0
		.amdhsa_exception_fp_ieee_underflow 0
		.amdhsa_exception_fp_ieee_inexact 0
		.amdhsa_exception_int_div_zero 0
	.end_amdhsa_kernel
	.section	.text._ZN9rocsolver6v33100L22stebz_synthesis_kernelIfPfEEv15rocblas_erange_15rocblas_eorder_iiiT0_iiPiS6_PT_lS6_lS6_liS6_S8_S8_S8_S8_S6_S7_,"axG",@progbits,_ZN9rocsolver6v33100L22stebz_synthesis_kernelIfPfEEv15rocblas_erange_15rocblas_eorder_iiiT0_iiPiS6_PT_lS6_lS6_liS6_S8_S8_S8_S8_S6_S7_,comdat
.Lfunc_end6:
	.size	_ZN9rocsolver6v33100L22stebz_synthesis_kernelIfPfEEv15rocblas_erange_15rocblas_eorder_iiiT0_iiPiS6_PT_lS6_lS6_liS6_S8_S8_S8_S8_S6_S7_, .Lfunc_end6-_ZN9rocsolver6v33100L22stebz_synthesis_kernelIfPfEEv15rocblas_erange_15rocblas_eorder_iiiT0_iiPiS6_PT_lS6_lS6_liS6_S8_S8_S8_S8_S6_S7_
                                        ; -- End function
	.set _ZN9rocsolver6v33100L22stebz_synthesis_kernelIfPfEEv15rocblas_erange_15rocblas_eorder_iiiT0_iiPiS6_PT_lS6_lS6_liS6_S8_S8_S8_S8_S6_S7_.num_vgpr, 43
	.set _ZN9rocsolver6v33100L22stebz_synthesis_kernelIfPfEEv15rocblas_erange_15rocblas_eorder_iiiT0_iiPiS6_PT_lS6_lS6_liS6_S8_S8_S8_S8_S6_S7_.num_agpr, 0
	.set _ZN9rocsolver6v33100L22stebz_synthesis_kernelIfPfEEv15rocblas_erange_15rocblas_eorder_iiiT0_iiPiS6_PT_lS6_lS6_liS6_S8_S8_S8_S8_S6_S7_.numbered_sgpr, 36
	.set _ZN9rocsolver6v33100L22stebz_synthesis_kernelIfPfEEv15rocblas_erange_15rocblas_eorder_iiiT0_iiPiS6_PT_lS6_lS6_liS6_S8_S8_S8_S8_S6_S7_.num_named_barrier, 0
	.set _ZN9rocsolver6v33100L22stebz_synthesis_kernelIfPfEEv15rocblas_erange_15rocblas_eorder_iiiT0_iiPiS6_PT_lS6_lS6_liS6_S8_S8_S8_S8_S6_S7_.private_seg_size, 0
	.set _ZN9rocsolver6v33100L22stebz_synthesis_kernelIfPfEEv15rocblas_erange_15rocblas_eorder_iiiT0_iiPiS6_PT_lS6_lS6_liS6_S8_S8_S8_S8_S6_S7_.uses_vcc, 1
	.set _ZN9rocsolver6v33100L22stebz_synthesis_kernelIfPfEEv15rocblas_erange_15rocblas_eorder_iiiT0_iiPiS6_PT_lS6_lS6_liS6_S8_S8_S8_S8_S6_S7_.uses_flat_scratch, 0
	.set _ZN9rocsolver6v33100L22stebz_synthesis_kernelIfPfEEv15rocblas_erange_15rocblas_eorder_iiiT0_iiPiS6_PT_lS6_lS6_liS6_S8_S8_S8_S8_S6_S7_.has_dyn_sized_stack, 0
	.set _ZN9rocsolver6v33100L22stebz_synthesis_kernelIfPfEEv15rocblas_erange_15rocblas_eorder_iiiT0_iiPiS6_PT_lS6_lS6_liS6_S8_S8_S8_S8_S6_S7_.has_recursion, 0
	.set _ZN9rocsolver6v33100L22stebz_synthesis_kernelIfPfEEv15rocblas_erange_15rocblas_eorder_iiiT0_iiPiS6_PT_lS6_lS6_liS6_S8_S8_S8_S8_S6_S7_.has_indirect_call, 0
	.section	.AMDGPU.csdata,"",@progbits
; Kernel info:
; codeLenInByte = 2580
; TotalNumSgprs: 42
; NumVgprs: 43
; NumAgprs: 0
; TotalNumVgprs: 43
; ScratchSize: 0
; MemoryBound: 0
; FloatMode: 240
; IeeeMode: 1
; LDSByteSize: 0 bytes/workgroup (compile time only)
; SGPRBlocks: 5
; VGPRBlocks: 5
; NumSGPRsForWavesPerEU: 42
; NumVGPRsForWavesPerEU: 43
; AccumOffset: 44
; Occupancy: 8
; WaveLimiterHint : 1
; COMPUTE_PGM_RSRC2:SCRATCH_EN: 0
; COMPUTE_PGM_RSRC2:USER_SGPR: 2
; COMPUTE_PGM_RSRC2:TRAP_HANDLER: 0
; COMPUTE_PGM_RSRC2:TGID_X_EN: 1
; COMPUTE_PGM_RSRC2:TGID_Y_EN: 0
; COMPUTE_PGM_RSRC2:TGID_Z_EN: 0
; COMPUTE_PGM_RSRC2:TIDIG_COMP_CNT: 0
; COMPUTE_PGM_RSRC3_GFX90A:ACCUM_OFFSET: 10
; COMPUTE_PGM_RSRC3_GFX90A:TG_SPLIT: 0
	.section	.text._ZN9rocsolver6v33100L15bdsvdx_abs_eigsIfEEviPiPT_lS4_,"axG",@progbits,_ZN9rocsolver6v33100L15bdsvdx_abs_eigsIfEEviPiPT_lS4_,comdat
	.globl	_ZN9rocsolver6v33100L15bdsvdx_abs_eigsIfEEviPiPT_lS4_ ; -- Begin function _ZN9rocsolver6v33100L15bdsvdx_abs_eigsIfEEviPiPT_lS4_
	.p2align	8
	.type	_ZN9rocsolver6v33100L15bdsvdx_abs_eigsIfEEviPiPT_lS4_,@function
_ZN9rocsolver6v33100L15bdsvdx_abs_eigsIfEEviPiPT_lS4_: ; @_ZN9rocsolver6v33100L15bdsvdx_abs_eigsIfEEviPiPT_lS4_
; %bb.0:
	s_mov_b32 s12, s3
	s_load_dwordx8 s[4:11], s[0:1], 0x8
	s_load_dword s3, s[0:1], 0x0
	s_ashr_i32 s13, s12, 31
	s_lshl_b64 s[14:15], s[12:13], 2
	s_waitcnt lgkmcnt(0)
	s_add_u32 s4, s4, s14
	s_addc_u32 s5, s5, s15
	s_load_dword s15, s[4:5], 0x0
	s_load_dword s14, s[0:1], 0x34
	s_waitcnt lgkmcnt(0)
	s_cmp_le_i32 s15, s3
	s_cbranch_scc1 .LBB7_2
; %bb.1:
	v_mov_b32_e32 v1, 0
	v_mov_b32_e32 v2, s3
	s_mov_b32 s15, s3
	global_store_dword v1, v2, s[4:5]
.LBB7_2:
	s_and_b32 s0, 0xffff, s14
	s_mul_i32 s2, s2, s0
	v_add_u32_e32 v0, s2, v0
	v_cmp_gt_i32_e32 vcc, s15, v0
	s_and_saveexec_b64 s[0:1], vcc
	s_cbranch_execz .LBB7_4
; %bb.3:
	s_mul_i32 s0, s8, s13
	s_mul_hi_u32 s1, s8, s12
	s_add_i32 s0, s1, s0
	s_mul_i32 s1, s9, s12
	s_add_i32 s1, s0, s1
	s_mul_i32 s0, s8, s12
	s_lshl_b64 s[0:1], s[0:1], 2
	s_add_u32 s0, s6, s0
	s_mul_i32 s2, s12, s3
	s_addc_u32 s1, s7, s1
	s_lshl_b32 s2, s2, 1
	s_ashr_i32 s3, s2, 31
	s_lshl_b64 s[2:3], s[2:3], 2
	s_add_u32 s2, s10, s2
	v_ashrrev_i32_e32 v1, 31, v0
	s_addc_u32 s3, s11, s3
	v_lshlrev_b64 v[0:1], 2, v[0:1]
	v_lshl_add_u64 v[2:3], s[2:3], 0, v[0:1]
	global_load_dword v2, v[2:3], off
	v_lshl_add_u64 v[0:1], s[0:1], 0, v[0:1]
	s_waitcnt vmcnt(0)
	v_xor_b32_e32 v2, 0x80000000, v2
	global_store_dword v[0:1], v2, off
.LBB7_4:
	s_endpgm
	.section	.rodata,"a",@progbits
	.p2align	6, 0x0
	.amdhsa_kernel _ZN9rocsolver6v33100L15bdsvdx_abs_eigsIfEEviPiPT_lS4_
		.amdhsa_group_segment_fixed_size 0
		.amdhsa_private_segment_fixed_size 0
		.amdhsa_kernarg_size 296
		.amdhsa_user_sgpr_count 2
		.amdhsa_user_sgpr_dispatch_ptr 0
		.amdhsa_user_sgpr_queue_ptr 0
		.amdhsa_user_sgpr_kernarg_segment_ptr 1
		.amdhsa_user_sgpr_dispatch_id 0
		.amdhsa_user_sgpr_kernarg_preload_length 0
		.amdhsa_user_sgpr_kernarg_preload_offset 0
		.amdhsa_user_sgpr_private_segment_size 0
		.amdhsa_uses_dynamic_stack 0
		.amdhsa_enable_private_segment 0
		.amdhsa_system_sgpr_workgroup_id_x 1
		.amdhsa_system_sgpr_workgroup_id_y 1
		.amdhsa_system_sgpr_workgroup_id_z 0
		.amdhsa_system_sgpr_workgroup_info 0
		.amdhsa_system_vgpr_workitem_id 0
		.amdhsa_next_free_vgpr 4
		.amdhsa_next_free_sgpr 16
		.amdhsa_accum_offset 4
		.amdhsa_reserve_vcc 1
		.amdhsa_float_round_mode_32 0
		.amdhsa_float_round_mode_16_64 0
		.amdhsa_float_denorm_mode_32 3
		.amdhsa_float_denorm_mode_16_64 3
		.amdhsa_dx10_clamp 1
		.amdhsa_ieee_mode 1
		.amdhsa_fp16_overflow 0
		.amdhsa_tg_split 0
		.amdhsa_exception_fp_ieee_invalid_op 0
		.amdhsa_exception_fp_denorm_src 0
		.amdhsa_exception_fp_ieee_div_zero 0
		.amdhsa_exception_fp_ieee_overflow 0
		.amdhsa_exception_fp_ieee_underflow 0
		.amdhsa_exception_fp_ieee_inexact 0
		.amdhsa_exception_int_div_zero 0
	.end_amdhsa_kernel
	.section	.text._ZN9rocsolver6v33100L15bdsvdx_abs_eigsIfEEviPiPT_lS4_,"axG",@progbits,_ZN9rocsolver6v33100L15bdsvdx_abs_eigsIfEEviPiPT_lS4_,comdat
.Lfunc_end7:
	.size	_ZN9rocsolver6v33100L15bdsvdx_abs_eigsIfEEviPiPT_lS4_, .Lfunc_end7-_ZN9rocsolver6v33100L15bdsvdx_abs_eigsIfEEviPiPT_lS4_
                                        ; -- End function
	.set _ZN9rocsolver6v33100L15bdsvdx_abs_eigsIfEEviPiPT_lS4_.num_vgpr, 4
	.set _ZN9rocsolver6v33100L15bdsvdx_abs_eigsIfEEviPiPT_lS4_.num_agpr, 0
	.set _ZN9rocsolver6v33100L15bdsvdx_abs_eigsIfEEviPiPT_lS4_.numbered_sgpr, 16
	.set _ZN9rocsolver6v33100L15bdsvdx_abs_eigsIfEEviPiPT_lS4_.num_named_barrier, 0
	.set _ZN9rocsolver6v33100L15bdsvdx_abs_eigsIfEEviPiPT_lS4_.private_seg_size, 0
	.set _ZN9rocsolver6v33100L15bdsvdx_abs_eigsIfEEviPiPT_lS4_.uses_vcc, 1
	.set _ZN9rocsolver6v33100L15bdsvdx_abs_eigsIfEEviPiPT_lS4_.uses_flat_scratch, 0
	.set _ZN9rocsolver6v33100L15bdsvdx_abs_eigsIfEEviPiPT_lS4_.has_dyn_sized_stack, 0
	.set _ZN9rocsolver6v33100L15bdsvdx_abs_eigsIfEEviPiPT_lS4_.has_recursion, 0
	.set _ZN9rocsolver6v33100L15bdsvdx_abs_eigsIfEEviPiPT_lS4_.has_indirect_call, 0
	.section	.AMDGPU.csdata,"",@progbits
; Kernel info:
; codeLenInByte = 236
; TotalNumSgprs: 22
; NumVgprs: 4
; NumAgprs: 0
; TotalNumVgprs: 4
; ScratchSize: 0
; MemoryBound: 0
; FloatMode: 240
; IeeeMode: 1
; LDSByteSize: 0 bytes/workgroup (compile time only)
; SGPRBlocks: 2
; VGPRBlocks: 0
; NumSGPRsForWavesPerEU: 22
; NumVGPRsForWavesPerEU: 4
; AccumOffset: 4
; Occupancy: 8
; WaveLimiterHint : 0
; COMPUTE_PGM_RSRC2:SCRATCH_EN: 0
; COMPUTE_PGM_RSRC2:USER_SGPR: 2
; COMPUTE_PGM_RSRC2:TRAP_HANDLER: 0
; COMPUTE_PGM_RSRC2:TGID_X_EN: 1
; COMPUTE_PGM_RSRC2:TGID_Y_EN: 1
; COMPUTE_PGM_RSRC2:TGID_Z_EN: 0
; COMPUTE_PGM_RSRC2:TIDIG_COMP_CNT: 0
; COMPUTE_PGM_RSRC3_GFX90A:ACCUM_OFFSET: 0
; COMPUTE_PGM_RSRC3_GFX90A:TG_SPLIT: 0
	.section	.text._ZN9rocsolver6v33100L12stein_kernelIffPfEEviPT0_lS4_lPiS4_lS5_lS5_lT1_iilS5_lS5_S4_S5_S3_S3_,"axG",@progbits,_ZN9rocsolver6v33100L12stein_kernelIffPfEEviPT0_lS4_lPiS4_lS5_lS5_lT1_iilS5_lS5_S4_S5_S3_S3_,comdat
	.globl	_ZN9rocsolver6v33100L12stein_kernelIffPfEEviPT0_lS4_lPiS4_lS5_lS5_lT1_iilS5_lS5_S4_S5_S3_S3_ ; -- Begin function _ZN9rocsolver6v33100L12stein_kernelIffPfEEviPT0_lS4_lPiS4_lS5_lS5_lT1_iilS5_lS5_S4_S5_S3_S3_
	.p2align	8
	.type	_ZN9rocsolver6v33100L12stein_kernelIffPfEEviPT0_lS4_lPiS4_lS5_lS5_lT1_iilS5_lS5_S4_S5_S3_S3_,@function
_ZN9rocsolver6v33100L12stein_kernelIffPfEEviPT0_lS4_lPiS4_lS5_lS5_lT1_iilS5_lS5_S4_S5_S3_S3_: ; @_ZN9rocsolver6v33100L12stein_kernelIffPfEEviPT0_lS4_lPiS4_lS5_lS5_lT1_iilS5_lS5_S4_S5_S3_S3_
; %bb.0:
	s_load_dwordx16 s[36:51], s[0:1], 0x8
	s_mov_b32 s2, s3
	s_ashr_i32 s3, s3, 31
	s_lshl_b64 s[6:7], s[2:3], 2
	s_waitcnt lgkmcnt(0)
	s_add_u32 s4, s44, s6
	s_addc_u32 s5, s45, s7
	s_load_dword s26, s[4:5], 0x0
	s_waitcnt lgkmcnt(0)
	s_cmp_lt_i32 s26, 1
	s_cbranch_scc1 .LBB8_268
; %bb.1:
	s_load_dwordx8 s[16:23], s[0:1], 0x70
	s_load_dwordx4 s[12:15], s[0:1], 0x90
                                        ; implicit-def: $vgpr48 : SGPR spill to VGPR lane
	s_mov_b64 s[24:25], 0
	v_writelane_b32 v48, s6, 0
	s_waitcnt lgkmcnt(0)
	s_cmp_eq_u64 s[18:19], 0
	v_writelane_b32 v48, s7, 1
	s_cbranch_scc1 .LBB8_3
; %bb.2:
	s_mul_i32 s4, s20, s3
	s_mul_hi_u32 s5, s20, s2
	s_add_i32 s4, s5, s4
	s_mul_i32 s5, s21, s2
	s_add_i32 s5, s4, s5
	s_mul_i32 s4, s20, s2
	s_lshl_b64 s[4:5], s[4:5], 2
	s_add_u32 s24, s18, s4
	s_addc_u32 s25, s19, s5
.LBB8_3:
	v_writelane_b32 v48, s16, 2
	s_nop 1
	v_writelane_b32 v48, s17, 3
	v_writelane_b32 v48, s18, 4
	;; [unrolled: 1-line block ×7, first 2 shown]
	v_cmp_eq_u32_e64 s[18:19], 0, v0
	s_and_saveexec_b64 s[4:5], s[18:19]
; %bb.4:
	v_mov_b32_e32 v1, 0
	ds_write_b32 v1, v1
; %bb.5:
	s_or_b64 exec, exec, s[4:5]
	s_cmp_lg_u64 s[24:25], 0
	s_cselect_b64 s[20:21], -1, 0
	v_cmp_gt_u32_e32 vcc, s26, v0
	s_and_b64 s[6:7], vcc, s[20:21]
	s_and_saveexec_b64 s[4:5], s[6:7]
	s_cbranch_execz .LBB8_13
; %bb.6:
	v_xad_u32 v1, v0, -1, s26
	s_movk_i32 s6, 0xff
	v_cmp_lt_u32_e32 vcc, s6, v1
	s_mov_b64 s[8:9], -1
	v_mov_b32_e32 v2, v0
	s_and_saveexec_b64 s[6:7], vcc
	s_cbranch_execz .LBB8_10
; %bb.7:
	v_lshrrev_b32_e32 v1, 8, v1
	v_add_u32_e32 v6, 1, v1
	v_and_b32_e32 v7, 0x1fffffe, v6
	v_or_b32_e32 v1, 0x100, v0
	s_mov_b64 s[8:9], 0
	v_mov_b32_e32 v3, 0
	v_mov_b32_e32 v8, v7
	v_mov_b64_e32 v[4:5], v[0:1]
.LBB8_8:                                ; =>This Inner Loop Header: Depth=1
	v_mov_b32_e32 v2, v4
	v_add_u32_e32 v8, -2, v8
	v_lshl_add_u64 v[10:11], v[2:3], 2, s[24:25]
	v_mov_b32_e32 v2, v5
	v_cmp_eq_u32_e32 vcc, 0, v8
	v_add_u32_e32 v4, 0x200, v4
	v_add_u32_e32 v5, 0x200, v5
	v_lshl_add_u64 v[12:13], v[2:3], 2, s[24:25]
	s_or_b64 s[8:9], vcc, s[8:9]
	global_store_dword v[10:11], v3, off
	global_store_dword v[12:13], v3, off
	s_andn2_b64 exec, exec, s[8:9]
	s_cbranch_execnz .LBB8_8
; %bb.9:
	s_or_b64 exec, exec, s[8:9]
	v_cmp_ne_u32_e32 vcc, v6, v7
	v_lshl_or_b32 v2, v7, 8, v0
	s_orn2_b64 s[8:9], vcc, exec
.LBB8_10:
	s_or_b64 exec, exec, s[6:7]
	s_and_b64 exec, exec, s[8:9]
	s_cbranch_execz .LBB8_13
; %bb.11:
	v_mov_b32_e32 v3, 0
	v_lshl_add_u64 v[4:5], v[2:3], 2, s[24:25]
	s_mov_b64 s[6:7], 0
	s_mov_b64 s[8:9], 0x400
.LBB8_12:                               ; =>This Inner Loop Header: Depth=1
	v_add_u32_e32 v2, 0x100, v2
	v_cmp_le_i32_e32 vcc, s26, v2
	global_store_dword v[4:5], v3, off
	s_or_b64 s[6:7], vcc, s[6:7]
	v_lshl_add_u64 v[4:5], v[4:5], 0, s[8:9]
	s_andn2_b64 exec, exec, s[6:7]
	s_cbranch_execnz .LBB8_12
.LBB8_13:
	v_writelane_b32 v48, s24, 10
	s_nop 1
	v_writelane_b32 v48, s25, 11
	s_or_b64 exec, exec, s[4:5]
	s_load_dwordx8 s[4:11], s[0:1], 0x48
	s_mov_b32 s31, 0
	s_mov_b32 s27, s31
	v_mov_b32_e32 v3, 0
	s_waitcnt lgkmcnt(0)
	s_mul_i32 s16, s4, s3
	s_mul_hi_u32 s17, s4, s2
	s_mul_i32 s5, s5, s2
	s_add_i32 s16, s17, s16
	s_mul_i32 s4, s4, s2
	s_add_i32 s5, s16, s5
	s_lshl_b64 s[4:5], s[4:5], 2
	s_add_u32 s33, s50, s4
	s_addc_u32 s68, s51, s5
	s_lshl_b64 s[4:5], s[26:27], 2
	s_add_u32 s4, s33, s4
	s_addc_u32 s5, s68, s5
	v_writelane_b32 v48, s4, 12
	s_nop 1
	v_writelane_b32 v48, s5, 13
	s_nop 1
	global_load_dword v14, v3, s[4:5] offset:-4
	s_waitcnt vmcnt(0)
	v_cmp_gt_i32_e32 vcc, 1, v14
	s_cbranch_vccnz .LBB8_266
; %bb.14:
	s_load_dword s44, s[0:1], 0x0
	s_mul_i32 s4, s38, s3
	s_load_dwordx2 s[50:51], s[0:1], 0x68
	s_load_dwordx2 s[52:53], s[0:1], 0xa0
	s_mul_hi_u32 s0, s38, s2
	s_add_i32 s0, s0, s4
	s_mul_i32 s1, s39, s2
	s_add_i32 s1, s0, s1
	s_mul_i32 s0, s38, s2
	s_waitcnt lgkmcnt(0)
	s_ashr_i32 s45, s44, 31
	s_lshl_b64 s[0:1], s[0:1], 2
	s_add_u32 s36, s36, s0
	s_addc_u32 s37, s37, s1
	s_mul_i32 s0, s42, s3
	s_mul_hi_u32 s1, s42, s2
	s_add_i32 s0, s1, s0
	s_mul_i32 s1, s43, s2
	s_add_i32 s1, s0, s1
	s_mul_i32 s0, s42, s2
	s_lshl_b64 s[0:1], s[0:1], 2
	s_add_u32 s22, s40, s0
	s_addc_u32 s23, s41, s1
	s_mul_i32 s0, s48, s3
	s_mul_hi_u32 s1, s48, s2
	s_add_i32 s0, s1, s0
	s_mul_i32 s1, s49, s2
	s_add_i32 s1, s0, s1
	s_mul_i32 s0, s48, s2
	;; [unrolled: 9-line block ×3, first 2 shown]
	s_lshl_b64 s[0:1], s[0:1], 2
	s_mul_i32 s5, s44, 5
	s_add_u32 s91, s6, s0
	s_addc_u32 s24, s7, s1
	s_mul_hi_i32 s1, s5, s2
	s_mul_i32 s0, s5, s2
	s_lshl_b64 s[0:1], s[0:1], 2
	v_readlane_b32 s56, v48, 2
	s_add_u32 s40, s12, s0
	s_mul_hi_i32 s5, s44, s2
	s_mul_i32 s4, s44, s2
	v_readlane_b32 s57, v48, 3
	s_addc_u32 s41, s13, s1
	s_lshl_b64 s[4:5], s[4:5], 2
	s_mov_b64 s[8:9], s[56:57]
	s_add_u32 s42, s14, s4
	s_mul_i32 s3, s8, s3
	s_mul_hi_u32 s6, s8, s2
	s_addc_u32 s43, s15, s5
	s_add_i32 s3, s6, s3
	s_mul_i32 s6, s9, s2
	s_add_i32 s3, s3, s6
	s_mul_i32 s2, s8, s2
	s_ashr_i32 s5, s50, 31
	s_lshl_b64 s[2:3], s[2:3], 2
	s_mov_b32 s4, s50
	s_add_u32 s6, s10, s2
	s_addc_u32 s7, s11, s3
	s_lshl_b64 s[2:3], s[4:5], 2
	s_add_u32 s46, s6, s2
	s_mul_i32 s4, s44, 3
	s_addc_u32 s47, s7, s3
	s_ashr_i32 s5, s4, 31
	s_mov_b32 s2, s4
	s_lshl_b64 s[4:5], s[4:5], 2
	v_readlane_b32 s58, v48, 4
	v_readlane_b32 s59, v48, 5
	;; [unrolled: 1-line block ×6, first 2 shown]
	v_writelane_b32 v48, s2, 14
	s_add_u32 s54, s40, s4
	s_addc_u32 s55, s41, s5
	v_writelane_b32 v48, s3, 15
	s_lshl_b64 s[2:3], s[44:45], 3
	s_sub_u32 s50, 0, s2
	s_subb_u32 s28, 0, s3
	s_add_u32 s56, s54, s50
	s_addc_u32 s57, s55, s28
	s_lshl_b64 s[6:7], s[44:45], 2
	s_add_u32 s58, s56, s6
	s_addc_u32 s59, s57, s7
	s_add_u32 s60, s58, s2
	v_max_f32_e64 v1, s52, s52
	s_addc_u32 s61, s59, s3
	v_max_f32_e32 v28, 0, v1
	v_div_scale_f32 v1, s[2:3], s53, s53, 1.0
	v_rcp_f32_e32 v4, v1
	s_and_b64 s[62:63], s[18:19], s[20:21]
	s_add_u32 s6, s22, 4
	v_writelane_b32 v48, s6, 16
	s_addc_u32 s6, s23, 0
	v_writelane_b32 v48, s6, 17
	s_add_u32 s6, s36, 4
	v_fma_f32 v5, -v1, v4, 1.0
	v_writelane_b32 v48, s6, 18
	s_addc_u32 s6, s37, 0
	v_fmac_f32_e32 v4, v5, v4
	v_div_scale_f32 v5, vcc, 1.0, s53, 1.0
	s_add_u32 s0, s0, s4
	v_mul_f32_e32 v6, v5, v4
	s_addc_u32 s1, s1, s5
	v_fma_f32 v7, -v1, v6, v5
	s_add_u32 s0, s12, s0
	v_fmac_f32_e32 v6, v7, v4
	s_addc_u32 s1, s13, s1
	s_lshl_b32 s29, s44, 1
	v_fma_f32 v1, -v1, v6, v5
	v_add_u32_e32 v12, s44, v0
	s_add_u32 s64, s0, 8
	v_div_fmas_f32 v1, v1, v4, v6
	v_writelane_b32 v48, s6, 19
	v_ashrrev_i32_e32 v13, 31, v12
	s_addc_u32 s65, s1, 0
	v_lshlrev_b32_e32 v2, 2, v0
	s_movk_i32 s2, 0x80
	v_div_fixup_f32 v4, v1, s53, 1.0
	v_lshl_add_u64 v[12:13], v[12:13], 2, s[40:41]
	s_add_u32 s66, s40, 4
	s_mov_b32 s70, 0xff800000
	v_writelane_b32 v48, s22, 20
	v_add_u32_e32 v29, 8, v2
	v_cmp_gt_u32_e64 s[2:3], s2, v0
	v_not_b32_e32 v30, v0
	v_or_b32_e32 v1, 0x100, v0
	v_mov_b32_e32 v5, v4
	v_mov_b64_e32 v[6:7], v[2:3]
	v_lshl_add_u64 v[8:9], s[40:41], 0, v[2:3]
	v_lshl_add_u64 v[10:11], s[0:1], 0, v[2:3]
	v_lshl_add_u64 v[12:13], v[12:13], 0, 4
	s_addc_u32 s67, s41, 0
	s_brev_b32 s45, -2
	v_mov_b32_e32 v31, 0x260
	v_mov_b32_e32 v32, 1.0
	s_mov_b32 s71, 0x41dfffff
	s_mov_b32 s38, 0x41200000
	v_mov_b32_e32 v33, 1
	v_mov_b32_e32 v34, 8
	s_mov_b32 s39, 0
	v_cmp_gt_u32_e64 s[4:5], 64, v0
	v_cmp_gt_i32_e64 s[6:7], s44, v0
	s_mov_b64 s[72:73], 0x400
	s_mov_b32 s74, s31
	v_writelane_b32 v48, s23, 21
                                        ; implicit-def: $vgpr35
                                        ; implicit-def: $vgpr38
                                        ; implicit-def: $vgpr37
                                        ; implicit-def: $sgpr77
                                        ; implicit-def: $vgpr36
	v_writelane_b32 v48, s24, 22
	s_branch .LBB8_17
.LBB8_15:                               ;   in Loop: Header=BB8_17 Depth=1
	v_readlane_b32 s0, v48, 12
	v_readlane_b32 s1, v48, 13
	;; [unrolled: 1-line block ×3, first 2 shown]
	s_mov_b32 s39, s20
	v_readlane_b32 s23, v48, 21
	v_readlane_b32 s24, v48, 22
	s_nop 0
	global_load_dword v14, v3, s[0:1] offset:-4
.LBB8_16:                               ;   in Loop: Header=BB8_17 Depth=1
	s_add_i32 s74, s74, 1
	s_waitcnt vmcnt(0)
	v_cmp_ge_i32_e32 vcc, s74, v14
	s_cbranch_vccnz .LBB8_266
.LBB8_17:                               ; =>This Loop Header: Depth=1
                                        ;     Child Loop BB8_22 Depth 2
                                        ;     Child Loop BB8_26 Depth 2
                                        ;       Child Loop BB8_36 Depth 3
                                        ;       Child Loop BB8_39 Depth 3
	;; [unrolled: 1-line block ×5, first 2 shown]
                                        ;         Child Loop BB8_109 Depth 4
                                        ;         Child Loop BB8_115 Depth 4
	;; [unrolled: 1-line block ×5, first 2 shown]
                                        ;           Child Loop BB8_135 Depth 5
                                        ;         Child Loop BB8_153 Depth 4
                                        ;           Child Loop BB8_154 Depth 5
                                        ;           Child Loop BB8_156 Depth 5
                                        ;         Child Loop BB8_161 Depth 4
                                        ;       Child Loop BB8_202 Depth 3
                                        ;       Child Loop BB8_239 Depth 3
	;; [unrolled: 1-line block ×5, first 2 shown]
	s_mov_b32 s76, 0
	s_cmp_eq_u32 s74, 0
	s_mov_b64 s[0:1], 0
	s_cbranch_scc1 .LBB8_19
; %bb.18:                               ;   in Loop: Header=BB8_17 Depth=1
	s_mov_b32 s75, s31
	s_lshl_b64 s[0:1], s[74:75], 2
	s_add_u32 s0, s91, s0
	s_addc_u32 s1, s24, s1
	global_load_dword v2, v3, s[0:1] offset:-4
	s_mov_b64 s[0:1], s[74:75]
	s_waitcnt vmcnt(0)
	v_readfirstlane_b32 s76, v2
.LBB8_19:                               ;   in Loop: Header=BB8_17 Depth=1
	s_lshl_b64 s[0:1], s[0:1], 2
	s_add_u32 s0, s91, s0
	s_addc_u32 s1, s24, s1
	global_load_dword v2, v3, s[0:1]
	s_not_b32 s0, s76
	s_waitcnt vmcnt(0)
	v_readfirstlane_b32 s78, v2
	s_add_i32 s80, s0, s78
	s_sub_i32 s75, s78, s76
	s_cmp_lt_i32 s80, 1
	s_cselect_b64 s[82:83], -1, 0
	s_and_b64 vcc, exec, s[82:83]
	s_cbranch_vccnz .LBB8_24
; %bb.20:                               ;   in Loop: Header=BB8_17 Depth=1
	s_ashr_i32 s77, s76, 31
	s_lshl_b64 s[0:1], s[76:77], 2
	s_add_u32 s8, s36, s0
	s_addc_u32 s9, s37, s1
	s_add_u32 s12, s22, s0
	s_addc_u32 s13, s23, s1
	s_ashr_i32 s79, s78, 31
	s_lshl_b64 s[14:15], s[78:79], 2
	s_add_u32 s16, s36, s14
	s_addc_u32 s17, s37, s15
	s_add_i32 s10, s78, -2
	s_add_u32 s14, s22, s14
	s_addc_u32 s15, s23, s15
	global_load_dword v15, v3, s[8:9]
	global_load_dword v2, v3, s[12:13]
	global_load_dword v17, v3, s[16:17] offset:-4
	global_load_dword v19, v3, s[14:15] offset:-8
	s_cmp_ge_i32 s76, s10
	s_waitcnt vmcnt(3)
	v_and_b32_e32 v16, 0x7fffffff, v15
	s_waitcnt vmcnt(2)
	v_and_b32_e32 v18, 0x7fffffff, v2
	;; [unrolled: 2-line block ×4, first 2 shown]
	v_pk_add_f32 v[16:17], v[16:17], v[18:19]
	s_nop 0
	v_cmp_lt_f32_e32 vcc, v16, v17
	s_nop 1
	v_cndmask_b32_e32 v36, v16, v17, vcc
	s_cbranch_scc1 .LBB8_23
; %bb.21:                               ;   in Loop: Header=BB8_17 Depth=1
	v_readlane_b32 s8, v48, 16
	s_add_u32 s8, s8, s0
	v_readlane_b32 s9, v48, 17
	s_addc_u32 s9, s9, s1
	v_readlane_b32 s11, v48, 18
	s_add_u32 s0, s11, s0
	v_readlane_b32 s11, v48, 19
	s_addc_u32 s1, s11, s1
	s_mov_b32 s11, s76
.LBB8_22:                               ;   Parent Loop BB8_17 Depth=1
                                        ; =>  This Inner Loop Header: Depth=2
	global_load_dword v15, v3, s[0:1]
	s_add_i32 s11, s11, 1
	s_waitcnt vmcnt(0)
	v_add_f32_e64 v15, |v2|, |v15|
	global_load_dword v2, v3, s[8:9]
	s_add_u32 s8, s8, 4
	s_addc_u32 s9, s9, 0
	s_add_u32 s0, s0, 4
	s_addc_u32 s1, s1, 0
	s_cmp_lt_i32 s11, s10
	s_waitcnt vmcnt(0)
	v_add_f32_e64 v15, v15, |v2|
	v_cmp_lt_f32_e32 vcc, v36, v15
	s_nop 1
	v_cndmask_b32_e32 v36, v36, v15, vcc
	s_cbranch_scc1 .LBB8_22
.LBB8_23:                               ;   in Loop: Header=BB8_17 Depth=1
	s_mov_b32 s8, 0x9999999a
	v_cvt_f64_u32_e32 v[16:17], s75
	s_mov_b32 s9, 0x3fb99999
	v_div_scale_f64 v[18:19], s[0:1], v[16:17], v[16:17], s[8:9]
	v_rcp_f64_e32 v[20:21], v[18:19]
	v_div_scale_f64 v[22:23], vcc, s[8:9], v[16:17], s[8:9]
	s_mov_b32 s0, 0
	v_fma_f64 v[24:25], -v[18:19], v[20:21], 1.0
	v_fmac_f64_e32 v[20:21], v[20:21], v[24:25]
	v_fma_f64 v[24:25], -v[18:19], v[20:21], 1.0
	v_fmac_f64_e32 v[20:21], v[20:21], v[24:25]
	v_mul_f64 v[24:25], v[22:23], v[20:21]
	v_fma_f64 v[18:19], -v[18:19], v[24:25], v[22:23]
	v_div_fmas_f64 v[18:19], v[18:19], v[20:21], v[24:25]
	v_div_fixup_f64 v[16:17], v[18:19], v[16:17], s[8:9]
	s_brev_b32 s1, 8
	v_cmp_gt_f64_e32 vcc, s[0:1], v[16:17]
	s_and_b64 s[0:1], vcc, exec
	s_cselect_b32 s0, 0x100, 0
	v_ldexp_f64 v[16:17], v[16:17], s0
	v_rsq_f64_e32 v[18:19], v[16:17]
	s_cselect_b32 s0, 0xffffff80, 0
	v_cmp_class_f64_e32 vcc, v[16:17], v31
	v_mul_f32_e32 v37, 0x3a83126f, v36
	v_mul_f64 v[20:21], v[16:17], v[18:19]
	v_mul_f64 v[18:19], v[18:19], 0.5
	v_fma_f64 v[22:23], -v[18:19], v[20:21], 0.5
	v_fmac_f64_e32 v[20:21], v[20:21], v[22:23]
	v_fma_f64 v[24:25], -v[20:21], v[20:21], v[16:17]
	v_fmac_f64_e32 v[18:19], v[18:19], v[22:23]
	v_fmac_f64_e32 v[20:21], v[24:25], v[18:19]
	v_fma_f64 v[22:23], -v[20:21], v[20:21], v[16:17]
	v_fmac_f64_e32 v[20:21], v[22:23], v[18:19]
	v_ldexp_f64 v[18:19], v[20:21], s0
	v_cndmask_b32_e32 v17, v19, v17, vcc
	v_cndmask_b32_e32 v16, v18, v16, vcc
	v_cvt_f32_f64_e32 v38, v[16:17]
	s_mov_b32 s77, s39
.LBB8_24:                               ;   in Loop: Header=BB8_17 Depth=1
	s_cmp_ge_i32 s39, s26
	s_cbranch_scc1 .LBB8_16
; %bb.25:                               ;   in Loop: Header=BB8_17 Depth=1
	s_ashr_i32 s79, s78, 31
	s_lshl_b64 s[0:1], s[78:79], 2
	s_add_u32 s0, s36, s0
	s_addc_u32 s1, s37, s1
	v_writelane_b32 v48, s0, 23
	v_cvt_f32_u32_e32 v2, s75
	s_mov_b32 s81, s31
	v_writelane_b32 v48, s1, 24
	v_add_u32_e32 v16, s76, v0
	v_readlane_b32 s0, v48, 14
	v_readlane_b32 s1, v48, 15
	s_add_i32 s0, s80, s0
	s_ashr_i32 s1, s0, 31
	s_lshl_b64 s[0:1], s[0:1], 2
	s_add_u32 s86, s40, s0
	s_addc_u32 s87, s41, s1
	s_lshl_b64 s[0:1], s[80:81], 2
	s_add_u32 s88, s42, s0
	s_addc_u32 s89, s43, s1
	s_add_i32 s79, s80, -1
	v_mul_f32_e32 v39, v36, v2
	v_add_u32_e32 v2, s78, v30
	s_add_u32 s0, s54, s0
	v_subrev_u32_e32 v2, s76, v2
	s_addc_u32 s1, s55, s1
	v_lshrrev_b32_e32 v14, 8, v2
	v_writelane_b32 v48, s0, 25
	v_add_u32_e32 v15, 1, v14
	v_ashrrev_i32_e32 v17, 31, v16
	v_writelane_b32 v48, s1, 26
	s_cmp_gt_u32 s75, 2
	s_movk_i32 s0, 0xff
	v_and_b32_e32 v40, 0x1fffffe, v15
	v_lshlrev_b64 v[18:19], 2, v[16:17]
	v_cmp_ge_i32_e64 s[8:9], s80, v0
	v_cmp_gt_i32_e64 s[10:11], s80, v0
	s_cselect_b64 s[92:93], -1, 0
	v_cmp_gt_u32_e64 s[12:13], s75, v0
	v_cmp_lt_u32_e64 s[14:15], s0, v2
	v_lshl_or_b32 v14, v40, 8, v0
	v_cmp_ne_u32_e64 s[16:17], v15, v40
	v_lshl_add_u64 v[16:17], s[36:37], 0, v[18:19]
	v_lshl_add_u64 v[18:19], s[22:23], 0, v[18:19]
	s_mov_b32 s84, 0
	s_sub_i32 s81, 0, s76
	s_mul_i32 s85, s51, s39
	v_mov_b32_e32 v41, s75
	v_mov_b32_e32 v2, v35
	s_mov_b32 s94, s39
.LBB8_26:                               ;   Parent Loop BB8_17 Depth=1
                                        ; =>  This Loop Header: Depth=2
                                        ;       Child Loop BB8_36 Depth 3
                                        ;       Child Loop BB8_39 Depth 3
	;; [unrolled: 1-line block ×5, first 2 shown]
                                        ;         Child Loop BB8_109 Depth 4
                                        ;         Child Loop BB8_115 Depth 4
	;; [unrolled: 1-line block ×5, first 2 shown]
                                        ;           Child Loop BB8_135 Depth 5
                                        ;         Child Loop BB8_153 Depth 4
                                        ;           Child Loop BB8_154 Depth 5
                                        ;           Child Loop BB8_156 Depth 5
                                        ;         Child Loop BB8_161 Depth 4
                                        ;       Child Loop BB8_202 Depth 3
                                        ;       Child Loop BB8_239 Depth 3
                                        ;       Child Loop BB8_252 Depth 3
                                        ;       Child Loop BB8_258 Depth 3
                                        ;       Child Loop BB8_262 Depth 3
	s_ashr_i32 s95, s94, 31
	s_lshl_b64 s[20:21], s[94:95], 2
	s_add_u32 s0, s33, s20
	s_addc_u32 s1, s68, s21
	global_load_dword v15, v3, s[0:1]
	s_mov_b64 s[0:1], -1
	s_waitcnt vmcnt(0)
	v_add_u32_e32 v15, -1, v15
	v_cmp_ne_u32_e32 vcc, s74, v15
	s_cbranch_vccnz .LBB8_30
; %bb.27:                               ;   in Loop: Header=BB8_26 Depth=2
	s_add_u32 s0, s27, s20
	s_addc_u32 s1, s69, s21
	global_load_dword v35, v3, s[0:1]
	s_mov_b64 s[0:1], -1
	s_and_b64 vcc, exec, s[82:83]
	s_cbranch_vccnz .LBB8_31
; %bb.28:                               ;   in Loop: Header=BB8_26 Depth=2
	s_and_b64 vcc, exec, s[0:1]
	s_cbranch_vccnz .LBB8_34
.LBB8_29:                               ;   in Loop: Header=BB8_26 Depth=2
	s_and_saveexec_b64 s[20:21], s[6:7]
	s_cbranch_execnz .LBB8_260
	s_branch .LBB8_264
.LBB8_30:                               ;   in Loop: Header=BB8_26 Depth=2
	s_mov_b32 s20, s94
	v_mov_b32_e32 v35, v2
                                        ; implicit-def: $sgpr84
                                        ; implicit-def: $sgpr85
	s_and_b64 vcc, exec, s[0:1]
	s_cbranch_vccz .LBB8_265
	s_branch .LBB8_15
.LBB8_31:                               ;   in Loop: Header=BB8_26 Depth=2
	s_and_saveexec_b64 s[0:1], s[18:19]
	s_cbranch_execz .LBB8_33
; %bb.32:                               ;   in Loop: Header=BB8_26 Depth=2
	global_store_dword v3, v32, s[40:41]
.LBB8_33:                               ;   in Loop: Header=BB8_26 Depth=2
	s_or_b64 exec, exec, s[0:1]
	s_barrier
	s_branch .LBB8_29
.LBB8_34:                               ;   in Loop: Header=BB8_26 Depth=2
	s_and_saveexec_b64 s[0:1], s[8:9]
	s_cbranch_execz .LBB8_37
; %bb.35:                               ;   in Loop: Header=BB8_26 Depth=2
	s_mul_i32 s20, s74, s26
	s_add_i32 s20, s94, s20
	v_lshl_or_b32 v20, s20, 8, v0
	v_sub_u32_e32 v15, 0x7ffffffe, v20
	v_sub_u32_e32 v21, 0xf7, v20
	s_mov_b32 s20, 0x7fffff07
	v_max_u32_e32 v21, 1, v21
	v_cmp_gt_u32_e32 vcc, s20, v15
	s_mov_b32 s20, 0x7ffffffe
	s_nop 0
	v_cndmask_b32_e32 v15, v21, v15, vcc
	v_cmp_ne_u32_e32 vcc, s20, v20
	v_add_u32_e32 v20, 1, v20
	s_mov_b32 s20, 0x40000001
	v_mul_hi_i32 v21, v20, s20
	v_lshrrev_b32_e32 v22, 31, v21
	v_ashrrev_i32_e32 v21, 29, v21
	v_add_u32_e32 v21, v21, v22
	v_mul_lo_u32 v21, v21, s45
	v_sub_u32_e32 v20, v20, v21
	v_cndmask_b32_e32 v15, 1, v15, vcc
	v_max_i32_e32 v23, 1, v20
	s_mov_b64 s[20:21], 0
	v_mov_b64_e32 v[20:21], v[8:9]
	v_mov_b32_e32 v22, v0
.LBB8_36:                               ;   Parent Loop BB8_17 Depth=1
                                        ;     Parent Loop BB8_26 Depth=2
                                        ; =>    This Inner Loop Header: Depth=3
	s_mov_b32 s22, 0x5e4789c9
	s_mov_b32 s23, 0x4f7a09cd
	v_mul_hi_i32 v24, v23, s22
	v_mul_hi_i32 v25, v15, s23
	v_lshrrev_b32_e32 v26, 31, v24
	v_ashrrev_i32_e32 v24, 14, v24
	v_lshrrev_b32_e32 v27, 31, v25
	v_ashrrev_i32_e32 v25, 14, v25
	v_add_u32_e32 v24, v24, v26
	v_add_u32_e32 v25, v25, v27
	v_mul_i32_i24_e32 v26, 0xadc8, v24
	v_mul_i32_i24_e32 v27, 0xce26, v25
	s_mov_b32 s24, 0xbc8f
	s_mov_b32 s25, 0x9ef4
	v_sub_u32_e32 v23, v23, v26
	v_sub_u32_e32 v15, v15, v27
	s_movk_i32 s30, 0xf2b9
	s_movk_i32 s34, 0xf131
	v_mul_lo_u32 v23, v23, s24
	v_mul_lo_u32 v15, v15, s25
	v_mad_i32_i24 v23, v24, s30, v23
	v_mad_i32_i24 v15, v25, s34, v15
	v_ashrrev_i32_e32 v24, 31, v23
	v_ashrrev_i32_e32 v25, 31, v15
	v_and_b32_e32 v24, 0x7fffffff, v24
	v_and_b32_e32 v25, 0x7fffff07, v25
	v_add_u32_e32 v23, v24, v23
	v_add_u32_e32 v15, v25, v15
	v_sub_u32_e32 v24, v23, v15
	v_ashrrev_i32_e32 v25, 31, v24
	v_and_b32_e32 v25, 0x7fffffff, v25
	v_add_u32_e32 v24, v25, v24
	v_cvt_f64_i32_e32 v[24:25], v24
	v_div_scale_f64 v[26:27], s[22:23], s[70:71], s[70:71], v[24:25]
	v_rcp_f64_e32 v[42:43], v[26:27]
	v_add_u32_e32 v22, 0x100, v22
	v_cmp_lt_i32_e32 vcc, s80, v22
	s_or_b64 s[20:21], vcc, s[20:21]
	v_fma_f64 v[46:47], -v[26:27], v[42:43], 1.0
	v_fmac_f64_e32 v[42:43], v[42:43], v[46:47]
	v_fma_f64 v[46:47], -v[26:27], v[42:43], 1.0
	v_div_scale_f64 v[44:45], vcc, v[24:25], s[70:71], v[24:25]
	v_fmac_f64_e32 v[42:43], v[42:43], v[46:47]
	v_mul_f64 v[46:47], v[44:45], v[42:43]
	v_fma_f64 v[26:27], -v[26:27], v[46:47], v[44:45]
	s_nop 0
	v_div_fmas_f64 v[26:27], v[26:27], v[42:43], v[46:47]
	v_div_fixup_f64 v[24:25], v[26:27], s[70:71], v[24:25]
	v_cvt_f32_f64_e32 v24, v[24:25]
	global_store_dword v[20:21], v24, off
	v_lshl_add_u64 v[20:21], v[20:21], 0, s[72:73]
	s_andn2_b64 exec, exec, s[20:21]
	s_cbranch_execnz .LBB8_36
.LBB8_37:                               ;   in Loop: Header=BB8_26 Depth=2
	s_or_b64 exec, exec, s[0:1]
	s_and_saveexec_b64 s[0:1], s[10:11]
	s_cbranch_execz .LBB8_40
; %bb.38:                               ;   in Loop: Header=BB8_26 Depth=2
	s_mov_b64 s[20:21], 0
	v_mov_b64_e32 v[20:21], v[18:19]
	v_mov_b64_e32 v[22:23], v[16:17]
	;; [unrolled: 1-line block ×4, first 2 shown]
	v_mov_b32_e32 v15, v0
.LBB8_39:                               ;   Parent Loop BB8_17 Depth=1
                                        ;     Parent Loop BB8_26 Depth=2
                                        ; =>    This Inner Loop Header: Depth=3
	global_load_dword v42, v[22:23], off
	v_lshl_add_u64 v[22:23], v[22:23], 0, s[72:73]
	s_waitcnt vmcnt(0)
	global_store_dword v[26:27], v42, off
	global_load_dword v44, v[20:21], off
	v_add_u32_e32 v42, s29, v15
	v_add_u32_e32 v15, 0x100, v15
	v_ashrrev_i32_e32 v43, 31, v42
	v_cmp_le_i32_e32 vcc, s80, v15
	v_lshl_add_u64 v[42:43], v[42:43], 2, s[40:41]
	s_or_b64 s[20:21], vcc, s[20:21]
	v_lshl_add_u64 v[26:27], v[26:27], 0, s[72:73]
	v_lshl_add_u64 v[20:21], v[20:21], 0, s[72:73]
	s_waitcnt vmcnt(0)
	global_store_dword v[42:43], v44, off
	global_store_dword v[24:25], v44, off
	v_lshl_add_u64 v[24:25], v[24:25], 0, s[72:73]
	s_andn2_b64 exec, exec, s[20:21]
	s_cbranch_execnz .LBB8_39
.LBB8_40:                               ;   in Loop: Header=BB8_26 Depth=2
	s_or_b64 exec, exec, s[0:1]
	s_and_saveexec_b64 s[0:1], s[18:19]
	s_cbranch_execz .LBB8_42
; %bb.41:                               ;   in Loop: Header=BB8_26 Depth=2
	v_readlane_b32 s20, v48, 23
	v_readlane_b32 s21, v48, 24
	s_nop 4
	global_load_dword v15, v3, s[20:21] offset:-4
	s_waitcnt vmcnt(0)
	global_store_dword v3, v15, s[86:87]
.LBB8_42:                               ;   in Loop: Header=BB8_26 Depth=2
	s_or_b64 exec, exec, s[0:1]
	s_waitcnt vmcnt(0)
	v_mul_f32_e32 v15, s52, v35
	s_cmp_lg_u32 s84, 0
	v_mul_f32_e64 v20, |v15|, s38
	v_sub_f32_e32 v21, v35, v2
	s_cselect_b64 s[96:97], -1, 0
	s_cmp_eq_u32 s84, 0
	v_fma_f32 v15, |v15|, s38, v2
	v_cmp_lt_f32_e32 vcc, v21, v20
	s_barrier
	s_nop 0
	v_cndmask_b32_e32 v15, v35, v15, vcc
	s_cselect_b64 vcc, -1, 0
	v_cndmask_b32_e32 v35, v15, v35, vcc
	s_and_saveexec_b64 s[0:1], s[18:19]
	s_cbranch_execz .LBB8_69
; %bb.43:                               ;   in Loop: Header=BB8_26 Depth=2
	global_load_dword v15, v3, s[54:55]
	s_mov_b64 s[20:21], 0
	s_mov_b32 s30, 1
	global_store_dword v3, v3, s[88:89]
	s_waitcnt vmcnt(1)
	v_sub_f32_e32 v15, v15, v35
	global_store_dword v3, v15, s[54:55]
	global_load_dword v20, v3, s[56:57] offset:4
	s_waitcnt vmcnt(0)
	v_add_f32_e64 v15, |v15|, |v20|
	s_branch .LBB8_45
.LBB8_44:                               ;   in Loop: Header=BB8_45 Depth=3
	s_add_u32 s20, s20, 4
	s_addc_u32 s21, s21, 0
	s_add_i32 s30, s30, 1
	s_cmp_eq_u32 s75, s30
	s_cbranch_scc1 .LBB8_66
.LBB8_45:                               ;   Parent Loop BB8_17 Depth=1
                                        ;     Parent Loop BB8_26 Depth=2
                                        ; =>    This Inner Loop Header: Depth=3
	s_add_i32 s34, s30, -1
	s_add_u32 s22, s54, s20
	s_addc_u32 s23, s55, s21
	global_load_dword v20, v3, s[22:23] offset:4
	s_add_u32 s98, s58, s20
	s_addc_u32 s99, s59, s21
	s_cmp_lt_u32 s34, s79
	s_cselect_b64 s[24:25], -1, 0
	s_cmp_ge_u32 s34, s79
	s_waitcnt vmcnt(0)
	v_sub_f32_e32 v22, v20, v35
	global_store_dword v3, v22, s[22:23] offset:4
	global_load_dword v23, v3, s[98:99]
	s_waitcnt vmcnt(0)
	v_add_f32_e64 v20, |v22|, |v23|
	s_cbranch_scc1 .LBB8_47
; %bb.46:                               ;   in Loop: Header=BB8_45 Depth=3
	s_add_u32 s34, s56, s20
	s_addc_u32 s35, s57, s21
	global_load_dword v21, v3, s[34:35] offset:8
	s_waitcnt vmcnt(0)
	v_add_f32_e64 v20, v20, |v21|
.LBB8_47:                               ;   in Loop: Header=BB8_45 Depth=3
	global_load_dword v24, v3, s[22:23]
	s_waitcnt vmcnt(0)
	v_cmp_eq_f32_e32 vcc, 0, v24
	s_cbranch_vccnz .LBB8_58
; %bb.48:                               ;   in Loop: Header=BB8_45 Depth=3
	v_and_b32_e32 v21, 0x7fffffff, v24
	v_div_scale_f32 v25, s[34:35], v15, v15, v21
	v_rcp_f32_e32 v26, v25
	v_div_scale_f32 v21, vcc, v21, v15, v21
	v_fma_f32 v27, -v25, v26, 1.0
	v_fmac_f32_e32 v26, v27, v26
	v_mul_f32_e32 v27, v21, v26
	v_fma_f32 v42, -v25, v27, v21
	v_fmac_f32_e32 v27, v42, v26
	v_fma_f32 v21, -v25, v27, v21
	v_div_fmas_f32 v21, v21, v26, v27
	v_div_fixup_f32 v21, v21, v15, |v24|
	v_cmp_neq_f32_e32 vcc, 0, v23
	s_cbranch_vccz .LBB8_59
.LBB8_49:                               ;   in Loop: Header=BB8_45 Depth=3
	v_and_b32_e32 v25, 0x7fffffff, v23
	v_div_scale_f32 v26, s[34:35], v20, v20, v25
	v_rcp_f32_e32 v27, v26
	v_div_scale_f32 v25, vcc, v25, v20, v25
	s_add_u32 s48, s42, s20
	v_fma_f32 v42, -v26, v27, 1.0
	v_fmac_f32_e32 v27, v42, v27
	v_mul_f32_e32 v42, v25, v27
	v_fma_f32 v43, -v26, v42, v25
	v_fmac_f32_e32 v42, v43, v27
	v_fma_f32 v25, -v26, v42, v25
	v_div_fmas_f32 v25, v25, v27, v42
	v_div_fixup_f32 v25, v25, v20, |v23|
	v_cmp_nle_f32_e32 vcc, v25, v21
	s_addc_u32 s49, s43, s21
	s_mov_b64 s[34:35], -1
	s_cbranch_vccnz .LBB8_53
; %bb.50:                               ;   in Loop: Header=BB8_45 Depth=3
	v_div_scale_f32 v26, s[34:35], v24, v24, v23
	v_rcp_f32_e32 v27, v26
	v_div_scale_f32 v42, vcc, v23, v24, v23
	s_add_u32 s34, s56, s20
	v_fma_f32 v43, -v26, v27, 1.0
	v_fmac_f32_e32 v27, v43, v27
	v_mul_f32_e32 v43, v42, v27
	v_fma_f32 v44, -v26, v43, v42
	v_fmac_f32_e32 v43, v44, v27
	v_fma_f32 v26, -v26, v43, v42
	v_div_fmas_f32 v26, v26, v27, v43
	v_div_fixup_f32 v26, v26, v24, v23
	global_store_dword v3, v26, s[98:99]
	s_addc_u32 s35, s57, s21
	global_load_dword v27, v3, s[22:23] offset:4
	global_load_dword v42, v3, s[34:35] offset:4
	s_andn2_b64 vcc, exec, s[24:25]
	global_store_dword v3, v3, s[48:49]
	s_waitcnt vmcnt(1)
	v_fma_f32 v26, -v26, v42, v27
	global_store_dword v3, v26, s[22:23] offset:4
	s_cbranch_vccnz .LBB8_52
; %bb.51:                               ;   in Loop: Header=BB8_45 Depth=3
	s_add_u32 s34, s60, s20
	s_addc_u32 s35, s61, s21
	global_store_dword v3, v3, s[34:35]
.LBB8_52:                               ;   in Loop: Header=BB8_45 Depth=3
	s_mov_b64 s[34:35], 0
.LBB8_53:                               ;   in Loop: Header=BB8_45 Depth=3
	s_andn2_b64 vcc, exec, s[34:35]
	v_mov_b32_e32 v26, v20
	s_cbranch_vccnz .LBB8_57
; %bb.54:                               ;   in Loop: Header=BB8_45 Depth=3
	s_add_u32 s34, s56, s20
	global_store_dword v3, v23, s[22:23]
	s_addc_u32 s35, s57, s21
	global_load_dword v26, v3, s[34:35] offset:4
	v_div_scale_f32 v43, vcc, v24, v23, v24
	global_store_dword v3, v33, s[48:49]
	v_div_scale_f32 v27, s[48:49], v23, v23, v24
	v_rcp_f32_e32 v42, v27
	s_nop 0
	v_fma_f32 v44, -v27, v42, 1.0
	v_fmac_f32_e32 v42, v44, v42
	v_mul_f32_e32 v44, v43, v42
	v_fma_f32 v45, -v27, v44, v43
	v_fmac_f32_e32 v44, v45, v42
	v_fma_f32 v27, -v27, v44, v43
	v_div_fmas_f32 v27, v27, v42, v44
	v_div_fixup_f32 v23, v27, v23, v24
	s_andn2_b64 vcc, exec, s[24:25]
	s_waitcnt vmcnt(1)
	v_fma_f32 v24, -v22, v23, v26
	global_store_dword v3, v24, s[22:23] offset:4
	s_cbranch_vccnz .LBB8_56
; %bb.55:                               ;   in Loop: Header=BB8_45 Depth=3
	global_load_dword v24, v3, s[34:35] offset:8
	s_add_u32 s22, s60, s20
	s_addc_u32 s23, s61, s21
	s_waitcnt vmcnt(0)
	global_store_dword v3, v24, s[22:23]
	v_mul_f32_e64 v24, v24, -v23
	global_store_dword v3, v24, s[34:35] offset:8
.LBB8_56:                               ;   in Loop: Header=BB8_45 Depth=3
	v_mov_b32_e32 v26, v15
	global_store_dword v3, v22, s[34:35] offset:4
	global_store_dword v3, v23, s[98:99]
.LBB8_57:                               ;   in Loop: Header=BB8_45 Depth=3
	v_mov_b32_e32 v15, v26
	s_cbranch_execz .LBB8_60
	s_branch .LBB8_63
.LBB8_58:                               ;   in Loop: Header=BB8_45 Depth=3
	v_mov_b32_e32 v21, 0
	v_cmp_neq_f32_e32 vcc, 0, v23
	s_cbranch_vccnz .LBB8_49
.LBB8_59:                               ;   in Loop: Header=BB8_45 Depth=3
                                        ; implicit-def: $vgpr25
                                        ; implicit-def: $vgpr15
.LBB8_60:                               ;   in Loop: Header=BB8_45 Depth=3
	s_add_u32 s22, s42, s20
	s_addc_u32 s23, s43, s21
	s_andn2_b64 vcc, exec, s[24:25]
	global_store_dword v3, v3, s[22:23]
	s_cbranch_vccnz .LBB8_62
; %bb.61:                               ;   in Loop: Header=BB8_45 Depth=3
	s_add_u32 s22, s60, s20
	s_addc_u32 s23, s61, s21
	global_store_dword v3, v3, s[22:23]
.LBB8_62:                               ;   in Loop: Header=BB8_45 Depth=3
	v_mov_b32_e32 v25, 0
	v_mov_b32_e32 v15, v20
.LBB8_63:                               ;   in Loop: Header=BB8_45 Depth=3
	v_max_f32_e32 v20, v25, v25
	v_max_f32_e32 v21, v21, v21
	v_max_f32_e32 v20, v21, v20
	v_cmp_nle_f32_e32 vcc, v20, v28
	s_cbranch_vccnz .LBB8_44
; %bb.64:                               ;   in Loop: Header=BB8_45 Depth=3
	global_load_dword v20, v3, s[88:89]
	s_waitcnt vmcnt(0)
	v_cmp_ne_u32_e32 vcc, 0, v20
	s_cbranch_vccnz .LBB8_44
; %bb.65:                               ;   in Loop: Header=BB8_45 Depth=3
	v_mov_b32_e32 v20, s30
	global_store_dword v3, v20, s[88:89]
	s_branch .LBB8_44
.LBB8_66:                               ;   in Loop: Header=BB8_26 Depth=2
	v_readlane_b32 s20, v48, 25
	v_readlane_b32 s21, v48, 26
	v_mul_f32_e32 v15, v28, v15
	s_nop 3
	global_load_dword v20, v3, s[20:21]
	s_waitcnt vmcnt(0)
	v_cmp_le_f32_e64 s[20:21], |v20|, v15
	s_and_b64 vcc, exec, s[20:21]
	s_cbranch_vccz .LBB8_69
; %bb.67:                               ;   in Loop: Header=BB8_26 Depth=2
	global_load_dword v15, v3, s[88:89]
	s_waitcnt vmcnt(0)
	v_cmp_ne_u32_e32 vcc, 0, v15
	s_cbranch_vccnz .LBB8_69
; %bb.68:                               ;   in Loop: Header=BB8_26 Depth=2
	global_store_dword v3, v41, s[88:89]
.LBB8_69:                               ;   in Loop: Header=BB8_26 Depth=2
	s_or_b64 exec, exec, s[0:1]
	v_sub_f32_e32 v2, v35, v2
	v_cmp_gt_f32_e64 s[98:99], |v2|, v37
	s_mov_b32 s95, 0
	s_mov_b32 s90, 0
	v_mov_b32_e32 v2, 0
	v_bfrev_b32_e32 v15, -2
	s_and_saveexec_b64 s[20:21], s[8:9]
	s_cbranch_execz .LBB8_73
.LBB8_70:                               ;   in Loop: Header=BB8_26 Depth=2
	v_mov_b32_e32 v2, 0
	v_bfrev_b32_e32 v15, -2
	s_mov_b64 s[22:23], 0
	v_mov_b64_e32 v[20:21], v[8:9]
	v_mov_b32_e32 v22, v0
.LBB8_71:                               ;   Parent Loop BB8_17 Depth=1
                                        ;     Parent Loop BB8_26 Depth=2
                                        ; =>    This Inner Loop Header: Depth=3
	global_load_dword v23, v[20:21], off
	v_cmp_eq_u32_e32 vcc, s45, v15
	v_add_u32_e32 v24, 1, v22
	v_add_u32_e32 v22, 0x100, v22
	v_cmp_lt_i32_e64 s[0:1], s80, v22
	v_lshl_add_u64 v[20:21], v[20:21], 0, s[72:73]
	s_waitcnt vmcnt(0)
	v_cmp_lt_f32_e64 s[24:25], v2, |v23|
	s_or_b64 vcc, s[24:25], vcc
	v_cndmask_b32_e64 v2, v2, |v23|, vcc
	s_or_b64 s[22:23], s[0:1], s[22:23]
	v_cndmask_b32_e32 v15, v15, v24, vcc
	s_andn2_b64 exec, exec, s[22:23]
	s_cbranch_execnz .LBB8_71
; %bb.72:                               ;   in Loop: Header=BB8_26 Depth=2
	s_or_b64 exec, exec, s[22:23]
.LBB8_73:                               ;   Parent Loop BB8_17 Depth=1
                                        ;     Parent Loop BB8_26 Depth=2
                                        ; =>    This Loop Header: Depth=3
                                        ;         Child Loop BB8_109 Depth 4
                                        ;         Child Loop BB8_115 Depth 4
	;; [unrolled: 1-line block ×5, first 2 shown]
                                        ;           Child Loop BB8_135 Depth 5
                                        ;         Child Loop BB8_153 Depth 4
                                        ;           Child Loop BB8_154 Depth 5
                                        ;           Child Loop BB8_156 Depth 5
                                        ;         Child Loop BB8_161 Depth 4
	s_or_b64 exec, exec, s[20:21]
	ds_write2st64_b32 v29, v2, v15 offset1:8
	s_waitcnt lgkmcnt(0)
	s_barrier
	s_and_saveexec_b64 s[20:21], s[2:3]
	s_cbranch_execz .LBB8_79
; %bb.74:                               ;   in Loop: Header=BB8_73 Depth=3
	ds_read2st64_b32 v[20:21], v29 offset0:2 offset1:10
	s_waitcnt lgkmcnt(0)
	v_cmp_lt_f32_e64 s[22:23], v2, v20
	v_cmp_nlt_f32_e32 vcc, v2, v20
	s_and_saveexec_b64 s[24:25], vcc
; %bb.75:                               ;   in Loop: Header=BB8_73 Depth=3
	v_cmp_eq_f32_e32 vcc, v2, v20
	v_cmp_gt_i32_e64 s[0:1], v15, v21
	s_and_b64 s[0:1], vcc, s[0:1]
	s_andn2_b64 s[22:23], s[22:23], exec
	s_and_b64 s[0:1], s[0:1], exec
	s_or_b64 s[22:23], s[22:23], s[0:1]
; %bb.76:                               ;   in Loop: Header=BB8_73 Depth=3
	s_or_b64 exec, exec, s[24:25]
	s_and_saveexec_b64 s[0:1], s[22:23]
; %bb.77:                               ;   in Loop: Header=BB8_73 Depth=3
	v_mov_b32_e32 v15, v21
	v_mov_b32_e32 v2, v20
	ds_write2st64_b32 v29, v20, v21 offset1:8
; %bb.78:                               ;   in Loop: Header=BB8_73 Depth=3
	s_or_b64 exec, exec, s[0:1]
.LBB8_79:                               ;   in Loop: Header=BB8_73 Depth=3
	s_or_b64 exec, exec, s[20:21]
	s_waitcnt lgkmcnt(0)
	s_barrier
	s_and_saveexec_b64 s[24:25], s[4:5]
	s_cbranch_execz .LBB8_106
; %bb.80:                               ;   in Loop: Header=BB8_73 Depth=3
	ds_read2st64_b32 v[20:21], v29 offset0:1 offset1:9
	s_waitcnt lgkmcnt(0)
	v_cmp_lt_f32_e64 s[20:21], v2, v20
	v_cmp_nlt_f32_e32 vcc, v2, v20
	s_and_saveexec_b64 s[22:23], vcc
; %bb.81:                               ;   in Loop: Header=BB8_73 Depth=3
	v_cmp_eq_f32_e32 vcc, v2, v20
	v_cmp_gt_i32_e64 s[0:1], v15, v21
	s_and_b64 s[0:1], vcc, s[0:1]
	s_andn2_b64 s[20:21], s[20:21], exec
	s_and_b64 s[0:1], s[0:1], exec
	s_or_b64 s[20:21], s[20:21], s[0:1]
; %bb.82:                               ;   in Loop: Header=BB8_73 Depth=3
	s_or_b64 exec, exec, s[22:23]
	s_and_saveexec_b64 s[0:1], s[20:21]
; %bb.83:                               ;   in Loop: Header=BB8_73 Depth=3
	v_mov_b32_e32 v2, v20
	v_mov_b32_e32 v15, v21
	ds_write2st64_b32 v29, v20, v21 offset1:8
; %bb.84:                               ;   in Loop: Header=BB8_73 Depth=3
	s_or_b64 exec, exec, s[0:1]
	v_add_u32_e32 v20, 0x80, v29
	ds_read2st64_b32 v[20:21], v20 offset1:8
	s_waitcnt lgkmcnt(0)
	v_cmp_lt_f32_e64 s[20:21], v2, v20
	v_cmp_nlt_f32_e32 vcc, v2, v20
	s_and_saveexec_b64 s[22:23], vcc
; %bb.85:                               ;   in Loop: Header=BB8_73 Depth=3
	v_cmp_eq_f32_e32 vcc, v2, v20
	v_cmp_gt_i32_e64 s[0:1], v15, v21
	s_and_b64 s[0:1], vcc, s[0:1]
	s_andn2_b64 s[20:21], s[20:21], exec
	s_and_b64 s[0:1], s[0:1], exec
	s_or_b64 s[20:21], s[20:21], s[0:1]
; %bb.86:                               ;   in Loop: Header=BB8_73 Depth=3
	s_or_b64 exec, exec, s[22:23]
	s_and_saveexec_b64 s[0:1], s[20:21]
; %bb.87:                               ;   in Loop: Header=BB8_73 Depth=3
	v_mov_b32_e32 v2, v20
	v_mov_b32_e32 v15, v21
	ds_write2st64_b32 v29, v20, v21 offset1:8
; %bb.88:                               ;   in Loop: Header=BB8_73 Depth=3
	s_or_b64 exec, exec, s[0:1]
	v_add_u32_e32 v20, 64, v29
	ds_read2st64_b32 v[20:21], v20 offset1:8
	s_waitcnt lgkmcnt(0)
	v_cmp_lt_f32_e64 s[20:21], v2, v20
	v_cmp_nlt_f32_e32 vcc, v2, v20
	s_and_saveexec_b64 s[22:23], vcc
; %bb.89:                               ;   in Loop: Header=BB8_73 Depth=3
	v_cmp_eq_f32_e32 vcc, v2, v20
	v_cmp_gt_i32_e64 s[0:1], v15, v21
	s_and_b64 s[0:1], vcc, s[0:1]
	s_andn2_b64 s[20:21], s[20:21], exec
	s_and_b64 s[0:1], s[0:1], exec
	s_or_b64 s[20:21], s[20:21], s[0:1]
; %bb.90:                               ;   in Loop: Header=BB8_73 Depth=3
	s_or_b64 exec, exec, s[22:23]
	s_and_saveexec_b64 s[0:1], s[20:21]
; %bb.91:                               ;   in Loop: Header=BB8_73 Depth=3
	v_mov_b32_e32 v2, v20
	v_mov_b32_e32 v15, v21
	ds_write2st64_b32 v29, v20, v21 offset1:8
; %bb.92:                               ;   in Loop: Header=BB8_73 Depth=3
	s_or_b64 exec, exec, s[0:1]
	v_add_u32_e32 v20, 32, v29
	ds_read2st64_b32 v[20:21], v20 offset1:8
	s_waitcnt lgkmcnt(0)
	v_cmp_lt_f32_e64 s[20:21], v2, v20
	v_cmp_nlt_f32_e32 vcc, v2, v20
	s_and_saveexec_b64 s[22:23], vcc
; %bb.93:                               ;   in Loop: Header=BB8_73 Depth=3
	v_cmp_eq_f32_e32 vcc, v2, v20
	v_cmp_gt_i32_e64 s[0:1], v15, v21
	s_and_b64 s[0:1], vcc, s[0:1]
	s_andn2_b64 s[20:21], s[20:21], exec
	s_and_b64 s[0:1], s[0:1], exec
	s_or_b64 s[20:21], s[20:21], s[0:1]
; %bb.94:                               ;   in Loop: Header=BB8_73 Depth=3
	s_or_b64 exec, exec, s[22:23]
	s_and_saveexec_b64 s[0:1], s[20:21]
; %bb.95:                               ;   in Loop: Header=BB8_73 Depth=3
	v_mov_b32_e32 v2, v20
	v_mov_b32_e32 v15, v21
	ds_write2st64_b32 v29, v20, v21 offset1:8
; %bb.96:                               ;   in Loop: Header=BB8_73 Depth=3
	s_or_b64 exec, exec, s[0:1]
	v_add_u32_e32 v20, 16, v29
	ds_read2st64_b32 v[20:21], v20 offset1:8
	s_waitcnt lgkmcnt(0)
	v_cmp_lt_f32_e64 s[20:21], v2, v20
	v_cmp_nlt_f32_e32 vcc, v2, v20
	s_and_saveexec_b64 s[22:23], vcc
; %bb.97:                               ;   in Loop: Header=BB8_73 Depth=3
	v_cmp_eq_f32_e32 vcc, v2, v20
	v_cmp_gt_i32_e64 s[0:1], v15, v21
	s_and_b64 s[0:1], vcc, s[0:1]
	s_andn2_b64 s[20:21], s[20:21], exec
	s_and_b64 s[0:1], s[0:1], exec
	s_or_b64 s[20:21], s[20:21], s[0:1]
; %bb.98:                               ;   in Loop: Header=BB8_73 Depth=3
	s_or_b64 exec, exec, s[22:23]
	s_and_saveexec_b64 s[0:1], s[20:21]
; %bb.99:                               ;   in Loop: Header=BB8_73 Depth=3
	v_mov_b32_e32 v2, v20
	v_mov_b32_e32 v15, v21
	ds_write2st64_b32 v29, v20, v21 offset1:8
; %bb.100:                              ;   in Loop: Header=BB8_73 Depth=3
	s_or_b64 exec, exec, s[0:1]
	v_add_u32_e32 v20, 8, v29
	ds_read2st64_b32 v[20:21], v20 offset1:8
	s_waitcnt lgkmcnt(0)
	v_cmp_lt_f32_e64 s[20:21], v2, v20
	v_cmp_nlt_f32_e32 vcc, v2, v20
	s_and_saveexec_b64 s[22:23], vcc
; %bb.101:                              ;   in Loop: Header=BB8_73 Depth=3
	v_cmp_eq_f32_e32 vcc, v2, v20
	v_cmp_gt_i32_e64 s[0:1], v15, v21
	s_and_b64 s[0:1], vcc, s[0:1]
	s_andn2_b64 s[20:21], s[20:21], exec
	s_and_b64 s[0:1], s[0:1], exec
	s_or_b64 s[20:21], s[20:21], s[0:1]
; %bb.102:                              ;   in Loop: Header=BB8_73 Depth=3
	s_or_b64 exec, exec, s[22:23]
	s_and_saveexec_b64 s[0:1], s[20:21]
; %bb.103:                              ;   in Loop: Header=BB8_73 Depth=3
	v_mov_b32_e32 v2, v20
	v_mov_b32_e32 v15, v21
	ds_write2st64_b32 v29, v20, v21 offset1:8
; %bb.104:                              ;   in Loop: Header=BB8_73 Depth=3
	s_or_b64 exec, exec, s[0:1]
	v_add_u32_e32 v20, 4, v29
	ds_read2st64_b32 v[20:21], v20 offset1:8
	s_waitcnt lgkmcnt(0)
	v_cmp_eq_f32_e64 s[0:1], v2, v20
	v_cmp_gt_i32_e64 s[20:21], v15, v21
	v_cmp_lt_f32_e32 vcc, v2, v20
	s_and_b64 s[0:1], s[0:1], s[20:21]
	s_or_b64 s[0:1], vcc, s[0:1]
	s_and_b64 exec, exec, s[0:1]
; %bb.105:                              ;   in Loop: Header=BB8_73 Depth=3
	ds_write2st64_b32 v29, v20, v21 offset1:8
.LBB8_106:                              ;   in Loop: Header=BB8_73 Depth=3
	s_or_b64 exec, exec, s[24:25]
	s_waitcnt lgkmcnt(0)
	s_barrier
	s_and_saveexec_b64 s[0:1], s[8:9]
	s_cbranch_execz .LBB8_116
; %bb.107:                              ;   in Loop: Header=BB8_73 Depth=3
	global_load_dword v2, v3, s[86:87]
	ds_read_b32 v20, v34
	v_mov_b32_e32 v15, s52
	s_mov_b64 s[22:23], -1
	s_waitcnt vmcnt(0)
	v_cmp_lt_f32_e64 s[20:21], s52, |v2|
	s_nop 1
	v_cndmask_b32_e64 v2, v15, |v2|, s[20:21]
	v_mul_f32_e32 v15, v39, v2
	s_waitcnt lgkmcnt(0)
	v_div_scale_f32 v21, s[20:21], v20, v20, v15
	v_rcp_f32_e32 v22, v21
	v_div_scale_f32 v23, vcc, v15, v20, v15
	v_mov_b32_e32 v2, v0
	v_fma_f32 v24, -v21, v22, 1.0
	v_fmac_f32_e32 v22, v24, v22
	v_mul_f32_e32 v24, v23, v22
	v_fma_f32 v25, -v21, v24, v23
	v_fmac_f32_e32 v24, v25, v22
	v_fma_f32 v21, -v21, v24, v23
	v_div_fmas_f32 v21, v21, v22, v24
	v_div_fixup_f32 v20, v21, v20, v15
	v_mov_b64_e32 v[22:23], v[6:7]
	s_and_saveexec_b64 s[20:21], s[14:15]
	s_cbranch_execz .LBB8_113
; %bb.108:                              ;   in Loop: Header=BB8_73 Depth=3
	v_mov_b32_e32 v21, v20
	s_mov_b64 s[22:23], 0
	v_mov_b32_e32 v15, v40
	v_mov_b64_e32 v[22:23], v[0:1]
.LBB8_109:                              ;   Parent Loop BB8_17 Depth=1
                                        ;     Parent Loop BB8_26 Depth=2
                                        ;       Parent Loop BB8_73 Depth=3
                                        ; =>      This Inner Loop Header: Depth=4
	v_mov_b32_e32 v2, v22
	v_lshl_add_u64 v[24:25], v[2:3], 2, s[40:41]
	v_mov_b32_e32 v2, v23
	v_lshl_add_u64 v[26:27], v[2:3], 2, s[40:41]
	global_load_dword v42, v[24:25], off
	global_load_dword v43, v[26:27], off
	v_add_u32_e32 v15, -2, v15
	v_cmp_eq_u32_e32 vcc, 0, v15
	v_add_u32_e32 v22, 0x200, v22
	v_add_u32_e32 v23, 0x200, v23
	s_or_b64 s[22:23], vcc, s[22:23]
	s_waitcnt vmcnt(0)
	v_pk_mul_f32 v[42:43], v[20:21], v[42:43]
	global_store_dword v[24:25], v42, off
	global_store_dword v[26:27], v43, off
	s_andn2_b64 exec, exec, s[22:23]
	s_cbranch_execnz .LBB8_109
; %bb.110:                              ;   in Loop: Header=BB8_73 Depth=3
	s_or_b64 exec, exec, s[22:23]
	s_mov_b64 s[22:23], 0
                                        ; implicit-def: $vgpr22_vgpr23
	s_and_saveexec_b64 s[24:25], s[16:17]
; %bb.111:                              ;   in Loop: Header=BB8_73 Depth=3
	v_mov_b32_e32 v15, v3
	s_mov_b64 s[22:23], exec
	v_lshlrev_b64 v[22:23], 2, v[14:15]
; %bb.112:                              ;   in Loop: Header=BB8_73 Depth=3
	s_or_b64 exec, exec, s[24:25]
	s_orn2_b64 s[22:23], s[22:23], exec
	v_mov_b32_e32 v2, v14
.LBB8_113:                              ;   in Loop: Header=BB8_73 Depth=3
	s_or_b64 exec, exec, s[20:21]
	s_and_b64 exec, exec, s[22:23]
	s_cbranch_execz .LBB8_116
; %bb.114:                              ;   in Loop: Header=BB8_73 Depth=3
	v_lshl_add_u64 v[22:23], s[40:41], 0, v[22:23]
	s_mov_b64 s[20:21], 0
.LBB8_115:                              ;   Parent Loop BB8_17 Depth=1
                                        ;     Parent Loop BB8_26 Depth=2
                                        ;       Parent Loop BB8_73 Depth=3
                                        ; =>      This Inner Loop Header: Depth=4
	global_load_dword v15, v[22:23], off
	v_add_u32_e32 v2, 0x100, v2
	v_cmp_lt_i32_e32 vcc, s80, v2
	s_or_b64 s[20:21], vcc, s[20:21]
	s_waitcnt vmcnt(0)
	v_mul_f32_e32 v15, v20, v15
	global_store_dword v[22:23], v15, off
	v_lshl_add_u64 v[22:23], v[22:23], 0, s[72:73]
	s_andn2_b64 exec, exec, s[20:21]
	s_cbranch_execnz .LBB8_115
.LBB8_116:                              ;   in Loop: Header=BB8_73 Depth=3
	s_or_b64 exec, exec, s[0:1]
	s_barrier
	s_and_saveexec_b64 s[20:21], s[18:19]
	s_cbranch_execz .LBB8_149
; %bb.117:                              ;   in Loop: Header=BB8_73 Depth=3
	global_load_dwordx2 v[20:21], v3, s[54:55]
	global_load_dword v2, v3, s[56:57] offset:4
	s_mov_b64 s[0:1], s[60:61]
	s_mov_b64 s[22:23], s[64:65]
	s_andn2_b64 vcc, exec, s[92:93]
	s_mov_b32 s24, s79
	s_waitcnt vmcnt(0)
	v_max3_f32 v2, |v20|, |v21|, |v2|
	s_cbranch_vccnz .LBB8_119
.LBB8_118:                              ;   Parent Loop BB8_17 Depth=1
                                        ;     Parent Loop BB8_26 Depth=2
                                        ;       Parent Loop BB8_73 Depth=3
                                        ; =>      This Inner Loop Header: Depth=4
	s_add_u32 s34, s22, s50
	s_addc_u32 s35, s23, s28
	global_load_dword v15, v3, s[0:1]
	global_load_dword v20, v3, s[22:23]
	;; [unrolled: 1-line block ×3, first 2 shown]
	s_add_i32 s24, s24, -1
	s_add_u32 s22, s22, 4
	s_addc_u32 s23, s23, 0
	s_add_u32 s0, s0, 4
	s_addc_u32 s1, s1, 0
	s_cmp_lg_u32 s24, 0
	s_waitcnt vmcnt(2)
	v_max_f32_e64 v15, |v15|, |v15|
	s_waitcnt vmcnt(0)
	v_max_f32_e64 v21, |v21|, |v21|
	v_max_f32_e32 v15, v21, v15
	v_max3_f32 v2, v2, |v20|, v15
	s_cbranch_scc1 .LBB8_118
.LBB8_119:                              ;   in Loop: Header=BB8_73 Depth=3
	s_mov_b32 s30, s80
	s_mov_b64 s[0:1], s[42:43]
	s_mov_b64 s[22:23], s[58:59]
	;; [unrolled: 1-line block ×3, first 2 shown]
	s_branch .LBB8_121
.LBB8_120:                              ;   in Loop: Header=BB8_121 Depth=4
	s_add_u32 s24, s24, 4
	s_addc_u32 s25, s25, 0
	s_add_u32 s22, s22, 4
	s_addc_u32 s23, s23, 0
	;; [unrolled: 2-line block ×3, first 2 shown]
	s_add_i32 s30, s30, -1
	s_cmp_lg_u32 s30, 0
	s_cbranch_scc0 .LBB8_125
.LBB8_121:                              ;   Parent Loop BB8_17 Depth=1
                                        ;     Parent Loop BB8_26 Depth=2
                                        ;       Parent Loop BB8_73 Depth=3
                                        ; =>      This Inner Loop Header: Depth=4
	global_load_dword v15, v3, s[0:1]
	s_waitcnt vmcnt(0)
	v_cmp_ne_u32_e32 vcc, 0, v15
	s_cbranch_vccz .LBB8_123
; %bb.122:                              ;   in Loop: Header=BB8_121 Depth=4
	global_load_dwordx2 v[20:21], v3, s[24:25] offset:-4
	s_waitcnt vmcnt(0)
	global_store_dword v3, v21, s[24:25] offset:-4
	global_load_dword v15, v3, s[22:23]
	s_waitcnt vmcnt(0)
	v_fma_f32 v15, -v21, v15, v20
	global_store_dword v3, v15, s[24:25]
	s_cbranch_execnz .LBB8_120
	s_branch .LBB8_124
.LBB8_123:                              ;   in Loop: Header=BB8_121 Depth=4
.LBB8_124:                              ;   in Loop: Header=BB8_121 Depth=4
	global_load_dwordx2 v[20:21], v3, s[24:25] offset:-4
	global_load_dword v15, v3, s[22:23]
	s_waitcnt vmcnt(0)
	v_fma_f32 v15, -v15, v20, v21
	global_store_dword v3, v15, s[24:25]
	s_branch .LBB8_120
.LBB8_125:                              ;   in Loop: Header=BB8_73 Depth=3
	v_mul_f32_e32 v2, s52, v2
	v_mov_b32_e32 v15, s52
	v_cmp_eq_f32_e32 vcc, 0, v2
	s_mov_b32 s30, s80
	s_nop 0
	v_cndmask_b32_e32 v2, v2, v15, vcc
	v_and_b32_e32 v15, 0x7fffffff, v2
	s_branch .LBB8_128
.LBB8_126:                              ;   in Loop: Header=BB8_128 Depth=4
	v_mov_b32_e32 v20, v22
.LBB8_127:                              ;   in Loop: Header=BB8_128 Depth=4
	v_div_scale_f32 v21, s[0:1], v23, v23, v20
	v_rcp_f32_e32 v22, v21
	v_div_scale_f32 v24, vcc, v20, v23, v20
	s_add_i32 s0, s30, -1
	v_fma_f32 v25, -v21, v22, 1.0
	v_fmac_f32_e32 v22, v25, v22
	v_mul_f32_e32 v25, v24, v22
	v_fma_f32 v26, -v21, v25, v24
	v_fmac_f32_e32 v25, v26, v22
	v_fma_f32 v21, -v21, v25, v24
	v_div_fmas_f32 v21, v21, v22, v25
	v_div_fixup_f32 v20, v21, v23, v20
	s_cmp_gt_i32 s30, 0
	s_mov_b32 s30, s0
	global_store_dword v3, v20, s[24:25]
	s_cbranch_scc0 .LBB8_149
.LBB8_128:                              ;   Parent Loop BB8_17 Depth=1
                                        ;     Parent Loop BB8_26 Depth=2
                                        ;       Parent Loop BB8_73 Depth=3
                                        ; =>      This Loop Header: Depth=4
                                        ;           Child Loop BB8_135 Depth 5
	s_lshl_b64 s[0:1], s[30:31], 2
	s_add_u32 s24, s40, s0
	s_addc_u32 s25, s41, s1
	global_load_dword v20, v3, s[24:25]
	s_cmp_ge_i32 s30, s80
	s_cbranch_scc1 .LBB8_130
; %bb.129:                              ;   in Loop: Header=BB8_128 Depth=4
	s_add_u32 s22, s56, s0
	s_addc_u32 s23, s57, s1
	global_load_dword v21, v3, s[22:23] offset:4
	global_load_dword v22, v3, s[24:25] offset:4
	s_waitcnt vmcnt(0)
	v_fma_f32 v20, -v21, v22, v20
.LBB8_130:                              ;   in Loop: Header=BB8_128 Depth=4
	s_cmp_ge_i32 s30, s79
	s_cbranch_scc1 .LBB8_132
; %bb.131:                              ;   in Loop: Header=BB8_128 Depth=4
	s_add_u32 s22, s60, s0
	s_addc_u32 s23, s61, s1
	global_load_dword v21, v3, s[22:23]
	global_load_dword v22, v3, s[24:25] offset:8
	s_waitcnt vmcnt(0)
	v_fma_f32 v20, -v21, v22, v20
.LBB8_132:                              ;   in Loop: Header=BB8_128 Depth=4
	s_add_u32 s0, s54, s0
	s_addc_u32 s1, s55, s1
	global_load_dword v23, v3, s[0:1]
	s_waitcnt vmcnt(0)
	v_cmp_nlt_f32_e64 s[0:1], |v23|, 1.0
	s_and_b64 vcc, exec, s[0:1]
	s_cbranch_vccnz .LBB8_127
; %bb.133:                              ;   in Loop: Header=BB8_128 Depth=4
	v_cmp_nle_f32_e32 vcc, 0, v23
	v_and_b32_e32 v25, 0x7fffffff, v23
	v_mul_f32_e64 v22, s53, |v20|
	v_cndmask_b32_e64 v24, |v2|, -v15, vcc
	s_branch .LBB8_135
.LBB8_134:                              ;   in Loop: Header=BB8_135 Depth=5
	v_add_f32_e32 v23, v21, v24
	v_add_f32_e32 v24, v24, v24
	v_and_b32_e32 v25, 0x7fffffff, v23
	v_cmp_nlt_f32_e64 s[34:35], |v23|, 1.0
	s_mov_b64 s[0:1], 0
	s_mov_b64 s[22:23], 0
	s_andn2_b64 vcc, exec, s[34:35]
	s_cbranch_vccz .LBB8_141
.LBB8_135:                              ;   Parent Loop BB8_17 Depth=1
                                        ;     Parent Loop BB8_26 Depth=2
                                        ;       Parent Loop BB8_73 Depth=3
                                        ;         Parent Loop BB8_128 Depth=4
                                        ; =>        This Inner Loop Header: Depth=5
	v_cmp_ngt_f32_e32 vcc, s53, v25
	v_mov_b32_e32 v21, v23
	s_mov_b64 s[22:23], -1
	s_mov_b64 s[0:1], 0
	s_mov_b64 s[34:35], 0
	s_mov_b64 s[48:49], -1
	s_cbranch_vccnz .LBB8_138
; %bb.136:                              ;   in Loop: Header=BB8_135 Depth=5
	s_andn2_b64 vcc, exec, s[48:49]
	s_cbranch_vccz .LBB8_139
.LBB8_137:                              ;   in Loop: Header=BB8_135 Depth=5
	s_andn2_b64 vcc, exec, s[34:35]
	s_cbranch_vccz .LBB8_134
	s_branch .LBB8_140
.LBB8_138:                              ;   in Loop: Header=BB8_135 Depth=5
	v_mul_f32_e32 v23, v4, v25
	v_cmp_gt_f32_e64 s[34:35], |v20|, v23
	s_cbranch_execnz .LBB8_137
.LBB8_139:                              ;   in Loop: Header=BB8_135 Depth=5
	v_cmp_eq_f32_e32 vcc, 0, v21
	v_cmp_gt_f32_e64 s[0:1], v22, v25
	s_or_b64 s[34:35], vcc, s[0:1]
	s_mov_b64 s[22:23], 0
	s_mov_b64 s[0:1], -1
	s_andn2_b64 vcc, exec, s[34:35]
	s_cbranch_vccz .LBB8_134
.LBB8_140:                              ;   in Loop: Header=BB8_128 Depth=4
                                        ; implicit-def: $vgpr24
                                        ; implicit-def: $vgpr23
                                        ; implicit-def: $vgpr25
.LBB8_141:                              ;   in Loop: Header=BB8_128 Depth=4
	s_mov_b64 s[34:35], -1
	s_and_b64 vcc, exec, s[22:23]
	s_cbranch_vccnz .LBB8_147
; %bb.142:                              ;   in Loop: Header=BB8_128 Depth=4
	s_xor_b64 s[22:23], s[0:1], -1
	s_mov_b64 s[0:1], -1
	s_and_b64 vcc, exec, s[22:23]
	s_cbranch_vccz .LBB8_144
; %bb.143:                              ;   in Loop: Header=BB8_128 Depth=4
	s_mov_b64 s[0:1], 0
.LBB8_144:                              ;   in Loop: Header=BB8_128 Depth=4
	s_andn2_b64 vcc, exec, s[0:1]
	v_mov_b32_e32 v22, v20
	s_cbranch_vccnz .LBB8_146
; %bb.145:                              ;   in Loop: Header=BB8_128 Depth=4
	v_pk_mul_f32 v[22:23], v[4:5], v[20:21]
.LBB8_146:                              ;   in Loop: Header=BB8_128 Depth=4
	s_cbranch_execnz .LBB8_126
	s_branch .LBB8_148
.LBB8_147:                              ;   in Loop: Header=BB8_128 Depth=4
                                        ; implicit-def: $vgpr23
	s_andn2_b64 vcc, exec, s[34:35]
	s_cbranch_vccnz .LBB8_126
.LBB8_148:                              ;   in Loop: Header=BB8_128 Depth=4
	v_mov_b32_e32 v23, v21
	v_mov_b32_e32 v22, v20
	s_branch .LBB8_126
.LBB8_149:                              ;   in Loop: Header=BB8_73 Depth=3
	s_or_b64 exec, exec, s[20:21]
	s_andn2_b64 vcc, exec, s[96:97]
	s_barrier
	s_cbranch_vccnz .LBB8_159
; %bb.150:                              ;   in Loop: Header=BB8_73 Depth=3
	s_and_b64 s[0:1], s[98:99], exec
	s_cselect_b32 s24, s94, s77
	s_cmp_eq_u32 s24, s94
	s_mov_b32 s77, s94
	s_cbranch_scc1 .LBB8_159
; %bb.151:                              ;   in Loop: Header=BB8_73 Depth=3
	s_cmp_lt_i32 s24, s94
	s_cselect_b64 s[0:1], -1, 0
	s_and_b64 s[20:21], s[18:19], s[0:1]
	s_and_saveexec_b64 s[0:1], s[20:21]
	s_cbranch_execz .LBB8_158
; %bb.152:                              ;   in Loop: Header=BB8_73 Depth=3
	s_mul_i32 s20, s51, s24
	s_add_i32 s25, s76, s20
	s_mov_b32 s30, s24
.LBB8_153:                              ;   Parent Loop BB8_17 Depth=1
                                        ;     Parent Loop BB8_26 Depth=2
                                        ;       Parent Loop BB8_73 Depth=3
                                        ; =>      This Loop Header: Depth=4
                                        ;           Child Loop BB8_154 Depth 5
                                        ;           Child Loop BB8_156 Depth 5
	v_mov_b32_e32 v2, 0
	s_mov_b64 s[20:21], s[40:41]
	s_mov_b32 s22, s25
	s_mov_b32 s34, s75
.LBB8_154:                              ;   Parent Loop BB8_17 Depth=1
                                        ;     Parent Loop BB8_26 Depth=2
                                        ;       Parent Loop BB8_73 Depth=3
                                        ;         Parent Loop BB8_153 Depth=4
                                        ; =>        This Inner Loop Header: Depth=5
	s_ashr_i32 s23, s22, 31
	s_lshl_b64 s[48:49], s[22:23], 2
	s_add_u32 s48, s46, s48
	s_addc_u32 s49, s47, s49
	global_load_dword v15, v3, s[20:21]
	global_load_dword v20, v3, s[48:49]
	s_add_i32 s34, s34, -1
	s_add_i32 s22, s22, 1
	s_add_u32 s20, s20, 4
	s_addc_u32 s21, s21, 0
	s_cmp_lg_u32 s34, 0
	s_waitcnt vmcnt(0)
	v_fmac_f32_e32 v2, v15, v20
	s_cbranch_scc1 .LBB8_154
; %bb.155:                              ;   in Loop: Header=BB8_153 Depth=4
	s_mov_b32 s22, 0
	s_mov_b64 s[20:21], s[40:41]
.LBB8_156:                              ;   Parent Loop BB8_17 Depth=1
                                        ;     Parent Loop BB8_26 Depth=2
                                        ;       Parent Loop BB8_73 Depth=3
                                        ;         Parent Loop BB8_153 Depth=4
                                        ; =>        This Inner Loop Header: Depth=5
	s_add_i32 s34, s25, s22
	s_ashr_i32 s35, s34, 31
	s_lshl_b64 s[34:35], s[34:35], 2
	s_add_u32 s34, s46, s34
	s_addc_u32 s35, s47, s35
	global_load_dword v15, v3, s[20:21]
	global_load_dword v20, v3, s[34:35]
	s_add_i32 s22, s22, 1
	s_waitcnt vmcnt(0)
	v_fma_f32 v15, -v2, v20, v15
	global_store_dword v3, v15, s[20:21]
	s_add_u32 s20, s20, 4
	s_addc_u32 s21, s21, 0
	s_cmp_lg_u32 s75, s22
	s_cbranch_scc1 .LBB8_156
; %bb.157:                              ;   in Loop: Header=BB8_153 Depth=4
	s_add_i32 s30, s30, 1
	s_add_i32 s25, s25, s51
	s_cmp_lt_i32 s30, s94
	s_cbranch_scc1 .LBB8_153
.LBB8_158:                              ;   in Loop: Header=BB8_73 Depth=3
	s_or_b64 exec, exec, s[0:1]
	s_mov_b32 s77, s24
	s_barrier
.LBB8_159:                              ;   in Loop: Header=BB8_73 Depth=3
	v_mov_b32_e32 v2, 0
	v_bfrev_b32_e32 v15, -2
	s_and_saveexec_b64 s[20:21], s[8:9]
	s_cbranch_execz .LBB8_163
; %bb.160:                              ;   in Loop: Header=BB8_73 Depth=3
	v_mov_b32_e32 v2, 0
	v_bfrev_b32_e32 v15, -2
	s_mov_b64 s[22:23], 0
	v_mov_b64_e32 v[20:21], v[8:9]
	v_mov_b32_e32 v22, v0
.LBB8_161:                              ;   Parent Loop BB8_17 Depth=1
                                        ;     Parent Loop BB8_26 Depth=2
                                        ;       Parent Loop BB8_73 Depth=3
                                        ; =>      This Inner Loop Header: Depth=4
	global_load_dword v23, v[20:21], off
	v_cmp_eq_u32_e32 vcc, s45, v15
	v_add_u32_e32 v24, 1, v22
	v_add_u32_e32 v22, 0x100, v22
	v_cmp_lt_i32_e64 s[0:1], s80, v22
	v_lshl_add_u64 v[20:21], v[20:21], 0, s[72:73]
	s_waitcnt vmcnt(0)
	v_cmp_lt_f32_e64 s[24:25], v2, |v23|
	s_or_b64 vcc, s[24:25], vcc
	v_cndmask_b32_e64 v2, v2, |v23|, vcc
	s_or_b64 s[22:23], s[0:1], s[22:23]
	v_cndmask_b32_e32 v15, v15, v24, vcc
	s_andn2_b64 exec, exec, s[22:23]
	s_cbranch_execnz .LBB8_161
; %bb.162:                              ;   in Loop: Header=BB8_73 Depth=3
	s_or_b64 exec, exec, s[22:23]
.LBB8_163:                              ;   in Loop: Header=BB8_73 Depth=3
	s_or_b64 exec, exec, s[20:21]
	ds_write2st64_b32 v29, v2, v15 offset1:8
	s_waitcnt lgkmcnt(0)
	s_barrier
	s_and_saveexec_b64 s[20:21], s[2:3]
	s_cbranch_execz .LBB8_169
; %bb.164:                              ;   in Loop: Header=BB8_73 Depth=3
	ds_read2st64_b32 v[20:21], v29 offset0:2 offset1:10
	s_waitcnt lgkmcnt(0)
	v_cmp_lt_f32_e64 s[22:23], v2, v20
	v_cmp_nlt_f32_e32 vcc, v2, v20
	s_and_saveexec_b64 s[24:25], vcc
; %bb.165:                              ;   in Loop: Header=BB8_73 Depth=3
	v_cmp_eq_f32_e32 vcc, v2, v20
	v_cmp_gt_i32_e64 s[0:1], v15, v21
	s_and_b64 s[0:1], vcc, s[0:1]
	s_andn2_b64 s[22:23], s[22:23], exec
	s_and_b64 s[0:1], s[0:1], exec
	s_or_b64 s[22:23], s[22:23], s[0:1]
; %bb.166:                              ;   in Loop: Header=BB8_73 Depth=3
	s_or_b64 exec, exec, s[24:25]
	s_and_saveexec_b64 s[0:1], s[22:23]
; %bb.167:                              ;   in Loop: Header=BB8_73 Depth=3
	v_mov_b32_e32 v15, v21
	v_mov_b32_e32 v2, v20
	ds_write2st64_b32 v29, v20, v21 offset1:8
; %bb.168:                              ;   in Loop: Header=BB8_73 Depth=3
	s_or_b64 exec, exec, s[0:1]
.LBB8_169:                              ;   in Loop: Header=BB8_73 Depth=3
	s_or_b64 exec, exec, s[20:21]
	s_waitcnt lgkmcnt(0)
	s_barrier
	s_and_saveexec_b64 s[24:25], s[4:5]
	s_cbranch_execz .LBB8_196
; %bb.170:                              ;   in Loop: Header=BB8_73 Depth=3
	ds_read2st64_b32 v[20:21], v29 offset0:1 offset1:9
	s_waitcnt lgkmcnt(0)
	v_cmp_lt_f32_e64 s[20:21], v2, v20
	v_cmp_nlt_f32_e32 vcc, v2, v20
	s_and_saveexec_b64 s[22:23], vcc
; %bb.171:                              ;   in Loop: Header=BB8_73 Depth=3
	v_cmp_eq_f32_e32 vcc, v2, v20
	v_cmp_gt_i32_e64 s[0:1], v15, v21
	s_and_b64 s[0:1], vcc, s[0:1]
	s_andn2_b64 s[20:21], s[20:21], exec
	s_and_b64 s[0:1], s[0:1], exec
	s_or_b64 s[20:21], s[20:21], s[0:1]
; %bb.172:                              ;   in Loop: Header=BB8_73 Depth=3
	s_or_b64 exec, exec, s[22:23]
	s_and_saveexec_b64 s[0:1], s[20:21]
; %bb.173:                              ;   in Loop: Header=BB8_73 Depth=3
	v_mov_b32_e32 v2, v20
	v_mov_b32_e32 v15, v21
	ds_write2st64_b32 v29, v20, v21 offset1:8
; %bb.174:                              ;   in Loop: Header=BB8_73 Depth=3
	s_or_b64 exec, exec, s[0:1]
	v_add_u32_e32 v20, 0x80, v29
	ds_read2st64_b32 v[20:21], v20 offset1:8
	s_waitcnt lgkmcnt(0)
	v_cmp_lt_f32_e64 s[20:21], v2, v20
	v_cmp_nlt_f32_e32 vcc, v2, v20
	s_and_saveexec_b64 s[22:23], vcc
; %bb.175:                              ;   in Loop: Header=BB8_73 Depth=3
	v_cmp_eq_f32_e32 vcc, v2, v20
	v_cmp_gt_i32_e64 s[0:1], v15, v21
	s_and_b64 s[0:1], vcc, s[0:1]
	s_andn2_b64 s[20:21], s[20:21], exec
	s_and_b64 s[0:1], s[0:1], exec
	s_or_b64 s[20:21], s[20:21], s[0:1]
; %bb.176:                              ;   in Loop: Header=BB8_73 Depth=3
	s_or_b64 exec, exec, s[22:23]
	s_and_saveexec_b64 s[0:1], s[20:21]
; %bb.177:                              ;   in Loop: Header=BB8_73 Depth=3
	v_mov_b32_e32 v2, v20
	v_mov_b32_e32 v15, v21
	ds_write2st64_b32 v29, v20, v21 offset1:8
; %bb.178:                              ;   in Loop: Header=BB8_73 Depth=3
	s_or_b64 exec, exec, s[0:1]
	v_add_u32_e32 v20, 64, v29
	ds_read2st64_b32 v[20:21], v20 offset1:8
	;; [unrolled: 22-line block ×6, first 2 shown]
	s_waitcnt lgkmcnt(0)
	v_cmp_eq_f32_e64 s[0:1], v2, v20
	v_cmp_gt_i32_e64 s[20:21], v15, v21
	v_cmp_lt_f32_e32 vcc, v2, v20
	s_and_b64 s[0:1], s[0:1], s[20:21]
	s_or_b64 s[0:1], vcc, s[0:1]
	s_and_b64 exec, exec, s[0:1]
; %bb.195:                              ;   in Loop: Header=BB8_73 Depth=3
	ds_write2st64_b32 v29, v20, v21 offset1:8
.LBB8_196:                              ;   in Loop: Header=BB8_73 Depth=3
	s_or_b64 exec, exec, s[24:25]
	s_waitcnt lgkmcnt(0)
	s_barrier
	ds_read_b32 v2, v34
	s_add_i32 s20, s90, 1
	s_waitcnt lgkmcnt(0)
	v_cmp_ge_f32_e32 vcc, v2, v38
	s_nop 1
	v_cndmask_b32_e64 v2, 0, 1, vcc
	s_nop 0
	v_readfirstlane_b32 s0, v2
	s_add_i32 s95, s95, s0
	s_cmp_lt_u32 s90, 4
	s_cselect_b64 s[22:23], -1, 0
	s_cmp_lt_u32 s95, 2
	s_cselect_b64 s[0:1], -1, 0
	s_and_b64 s[22:23], s[22:23], s[0:1]
	s_and_b64 vcc, exec, s[22:23]
	s_cbranch_vccz .LBB8_198
; %bb.197:                              ;   in Loop: Header=BB8_73 Depth=3
	s_mov_b32 s90, s20
	v_mov_b32_e32 v2, 0
	v_bfrev_b32_e32 v15, -2
	s_and_saveexec_b64 s[20:21], s[8:9]
	s_cbranch_execnz .LBB8_70
	s_branch .LBB8_73
.LBB8_198:                              ;   in Loop: Header=BB8_26 Depth=2
	s_and_b64 s[20:21], s[62:63], s[0:1]
	s_and_saveexec_b64 s[0:1], s[20:21]
	s_cbranch_execz .LBB8_200
; %bb.199:                              ;   in Loop: Header=BB8_26 Depth=2
	ds_read_b32 v20, v3
	s_add_i32 s20, s94, 1
	v_mov_b32_e32 v15, s20
	v_readlane_b32 s20, v48, 10
	v_readlane_b32 s21, v48, 11
	s_waitcnt lgkmcnt(0)
	v_ashrrev_i32_e32 v21, 31, v20
	v_add_u32_e32 v2, 1, v20
	v_lshlrev_b64 v[20:21], 2, v[20:21]
	v_lshl_add_u64 v[20:21], s[20:21], 0, v[20:21]
	global_store_dword v[20:21], v15, off
	ds_write_b32 v3, v2
.LBB8_200:                              ;   in Loop: Header=BB8_26 Depth=2
	s_or_b64 exec, exec, s[0:1]
	v_mov_b32_e32 v2, 0
	v_bfrev_b32_e32 v15, -2
	s_and_saveexec_b64 s[20:21], s[8:9]
	s_cbranch_execz .LBB8_204
; %bb.201:                              ;   in Loop: Header=BB8_26 Depth=2
	v_mov_b32_e32 v2, 0
	v_bfrev_b32_e32 v15, -2
	s_mov_b64 s[22:23], 0
	v_mov_b64_e32 v[20:21], v[8:9]
	v_mov_b32_e32 v22, v0
.LBB8_202:                              ;   Parent Loop BB8_17 Depth=1
                                        ;     Parent Loop BB8_26 Depth=2
                                        ; =>    This Inner Loop Header: Depth=3
	global_load_dword v23, v[20:21], off
	v_cmp_eq_u32_e32 vcc, s45, v15
	v_add_u32_e32 v24, 1, v22
	v_add_u32_e32 v22, 0x100, v22
	v_cmp_lt_i32_e64 s[0:1], s80, v22
	v_lshl_add_u64 v[20:21], v[20:21], 0, s[72:73]
	s_waitcnt vmcnt(0)
	v_cmp_lt_f32_e64 s[24:25], v2, |v23|
	s_or_b64 vcc, s[24:25], vcc
	v_cndmask_b32_e64 v2, v2, |v23|, vcc
	s_or_b64 s[22:23], s[0:1], s[22:23]
	v_cndmask_b32_e32 v15, v15, v24, vcc
	s_andn2_b64 exec, exec, s[22:23]
	s_cbranch_execnz .LBB8_202
; %bb.203:                              ;   in Loop: Header=BB8_26 Depth=2
	s_or_b64 exec, exec, s[22:23]
.LBB8_204:                              ;   in Loop: Header=BB8_26 Depth=2
	s_or_b64 exec, exec, s[20:21]
	ds_write2st64_b32 v29, v2, v15 offset1:8
	s_waitcnt lgkmcnt(0)
	s_barrier
	s_and_saveexec_b64 s[20:21], s[2:3]
	s_cbranch_execz .LBB8_210
; %bb.205:                              ;   in Loop: Header=BB8_26 Depth=2
	ds_read2st64_b32 v[20:21], v29 offset0:2 offset1:10
	s_waitcnt lgkmcnt(0)
	v_cmp_lt_f32_e64 s[22:23], v2, v20
	v_cmp_nlt_f32_e32 vcc, v2, v20
	s_and_saveexec_b64 s[24:25], vcc
; %bb.206:                              ;   in Loop: Header=BB8_26 Depth=2
	v_cmp_eq_f32_e32 vcc, v2, v20
	v_cmp_gt_i32_e64 s[0:1], v15, v21
	s_and_b64 s[0:1], vcc, s[0:1]
	s_andn2_b64 s[22:23], s[22:23], exec
	s_and_b64 s[0:1], s[0:1], exec
	s_or_b64 s[22:23], s[22:23], s[0:1]
; %bb.207:                              ;   in Loop: Header=BB8_26 Depth=2
	s_or_b64 exec, exec, s[24:25]
	s_and_saveexec_b64 s[0:1], s[22:23]
; %bb.208:                              ;   in Loop: Header=BB8_26 Depth=2
	v_mov_b32_e32 v15, v21
	v_mov_b32_e32 v2, v20
	ds_write2st64_b32 v29, v20, v21 offset1:8
; %bb.209:                              ;   in Loop: Header=BB8_26 Depth=2
	s_or_b64 exec, exec, s[0:1]
.LBB8_210:                              ;   in Loop: Header=BB8_26 Depth=2
	s_or_b64 exec, exec, s[20:21]
	s_waitcnt lgkmcnt(0)
	s_barrier
	s_and_saveexec_b64 s[24:25], s[4:5]
	s_cbranch_execz .LBB8_237
; %bb.211:                              ;   in Loop: Header=BB8_26 Depth=2
	ds_read2st64_b32 v[20:21], v29 offset0:1 offset1:9
	s_waitcnt lgkmcnt(0)
	v_cmp_lt_f32_e64 s[20:21], v2, v20
	v_cmp_nlt_f32_e32 vcc, v2, v20
	s_and_saveexec_b64 s[22:23], vcc
; %bb.212:                              ;   in Loop: Header=BB8_26 Depth=2
	v_cmp_eq_f32_e32 vcc, v2, v20
	v_cmp_gt_i32_e64 s[0:1], v15, v21
	s_and_b64 s[0:1], vcc, s[0:1]
	s_andn2_b64 s[20:21], s[20:21], exec
	s_and_b64 s[0:1], s[0:1], exec
	s_or_b64 s[20:21], s[20:21], s[0:1]
; %bb.213:                              ;   in Loop: Header=BB8_26 Depth=2
	s_or_b64 exec, exec, s[22:23]
	s_and_saveexec_b64 s[0:1], s[20:21]
; %bb.214:                              ;   in Loop: Header=BB8_26 Depth=2
	v_mov_b32_e32 v2, v20
	v_mov_b32_e32 v15, v21
	ds_write2st64_b32 v29, v20, v21 offset1:8
; %bb.215:                              ;   in Loop: Header=BB8_26 Depth=2
	s_or_b64 exec, exec, s[0:1]
	v_add_u32_e32 v20, 0x80, v29
	ds_read2st64_b32 v[20:21], v20 offset1:8
	s_waitcnt lgkmcnt(0)
	v_cmp_lt_f32_e64 s[20:21], v2, v20
	v_cmp_nlt_f32_e32 vcc, v2, v20
	s_and_saveexec_b64 s[22:23], vcc
; %bb.216:                              ;   in Loop: Header=BB8_26 Depth=2
	v_cmp_eq_f32_e32 vcc, v2, v20
	v_cmp_gt_i32_e64 s[0:1], v15, v21
	s_and_b64 s[0:1], vcc, s[0:1]
	s_andn2_b64 s[20:21], s[20:21], exec
	s_and_b64 s[0:1], s[0:1], exec
	s_or_b64 s[20:21], s[20:21], s[0:1]
; %bb.217:                              ;   in Loop: Header=BB8_26 Depth=2
	s_or_b64 exec, exec, s[22:23]
	s_and_saveexec_b64 s[0:1], s[20:21]
; %bb.218:                              ;   in Loop: Header=BB8_26 Depth=2
	v_mov_b32_e32 v2, v20
	v_mov_b32_e32 v15, v21
	ds_write2st64_b32 v29, v20, v21 offset1:8
; %bb.219:                              ;   in Loop: Header=BB8_26 Depth=2
	s_or_b64 exec, exec, s[0:1]
	v_add_u32_e32 v20, 64, v29
	ds_read2st64_b32 v[20:21], v20 offset1:8
	;; [unrolled: 22-line block ×6, first 2 shown]
	s_waitcnt lgkmcnt(0)
	v_cmp_eq_f32_e64 s[0:1], v2, v20
	v_cmp_gt_i32_e64 s[20:21], v15, v21
	v_cmp_lt_f32_e32 vcc, v2, v20
	s_and_b64 s[0:1], s[0:1], s[20:21]
	s_or_b64 s[0:1], vcc, s[0:1]
	s_and_b64 exec, exec, s[0:1]
; %bb.236:                              ;   in Loop: Header=BB8_26 Depth=2
	ds_write2st64_b32 v29, v20, v21 offset1:8
.LBB8_237:                              ;   in Loop: Header=BB8_26 Depth=2
	s_or_b64 exec, exec, s[24:25]
	v_mov_b32_e32 v2, 0
	s_and_saveexec_b64 s[0:1], s[12:13]
	s_cbranch_execz .LBB8_241
; %bb.238:                              ;   in Loop: Header=BB8_26 Depth=2
	v_mov_b32_e32 v2, 0
	s_mov_b64 s[20:21], 0
	v_mov_b64_e32 v[20:21], v[8:9]
	v_mov_b32_e32 v15, v0
.LBB8_239:                              ;   Parent Loop BB8_17 Depth=1
                                        ;     Parent Loop BB8_26 Depth=2
                                        ; =>    This Inner Loop Header: Depth=3
	global_load_dword v22, v[20:21], off
	v_add_u32_e32 v15, 0x100, v15
	v_cmp_le_u32_e32 vcc, s75, v15
	v_lshl_add_u64 v[20:21], v[20:21], 0, s[72:73]
	s_or_b64 s[20:21], vcc, s[20:21]
	s_waitcnt vmcnt(0)
	v_fmac_f32_e32 v2, v22, v22
	s_andn2_b64 exec, exec, s[20:21]
	s_cbranch_execnz .LBB8_239
; %bb.240:                              ;   in Loop: Header=BB8_26 Depth=2
	s_or_b64 exec, exec, s[20:21]
.LBB8_241:                              ;   in Loop: Header=BB8_26 Depth=2
	s_or_b64 exec, exec, s[0:1]
	ds_write_b32 v29, v2 offset:1024
	s_waitcnt lgkmcnt(0)
	s_barrier
	s_and_saveexec_b64 s[0:1], s[2:3]
	s_cbranch_execz .LBB8_243
; %bb.242:                              ;   in Loop: Header=BB8_26 Depth=2
	ds_read_b32 v15, v29 offset:1536
	s_waitcnt lgkmcnt(0)
	v_add_f32_e32 v2, v2, v15
.LBB8_243:                              ;   in Loop: Header=BB8_26 Depth=2
	s_or_b64 exec, exec, s[0:1]
	s_barrier
	s_and_saveexec_b64 s[0:1], s[2:3]
; %bb.244:                              ;   in Loop: Header=BB8_26 Depth=2
	ds_write_b32 v29, v2 offset:1024
; %bb.245:                              ;   in Loop: Header=BB8_26 Depth=2
	s_or_b64 exec, exec, s[0:1]
	s_waitcnt lgkmcnt(0)
	s_barrier
	s_and_saveexec_b64 s[0:1], s[4:5]
	s_cbranch_execz .LBB8_247
; %bb.246:                              ;   in Loop: Header=BB8_26 Depth=2
	ds_read2st64_b32 v[20:21], v29 offset0:4 offset1:5
	v_add_u32_e32 v2, 0x400, v29
	s_waitcnt lgkmcnt(0)
	v_add_f32_e32 v15, v20, v21
	ds_write_b32 v29, v15 offset:1024
	buffer_wbl2 sc1
	s_waitcnt vmcnt(0) lgkmcnt(0)
	buffer_inv sc1
	ds_read2_b32 v[20:21], v2 offset1:32
	s_waitcnt lgkmcnt(0)
	v_add_f32_e32 v15, v20, v21
	ds_write_b32 v29, v15 offset:1024
	buffer_wbl2 sc1
	s_waitcnt lgkmcnt(0)
	buffer_inv sc1
	ds_read2_b32 v[20:21], v2 offset1:16
	s_waitcnt lgkmcnt(0)
	v_add_f32_e32 v15, v20, v21
	ds_write_b32 v29, v15 offset:1024
	buffer_wbl2 sc1
	s_waitcnt lgkmcnt(0)
	;; [unrolled: 7-line block ×6, first 2 shown]
	buffer_inv sc1
.LBB8_247:                              ;   in Loop: Header=BB8_26 Depth=2
	s_or_b64 exec, exec, s[0:1]
	s_and_saveexec_b64 s[20:21], s[18:19]
	s_cbranch_execz .LBB8_249
; %bb.248:                              ;   in Loop: Header=BB8_26 Depth=2
	ds_read_b32 v2, v34 offset:1024
	s_mov_b32 s0, 0xf800000
	s_waitcnt lgkmcnt(0)
	v_mul_f32_e32 v15, 0x4f800000, v2
	v_cmp_gt_f32_e32 vcc, s0, v2
	s_nop 1
	v_cndmask_b32_e32 v2, v2, v15, vcc
	v_sqrt_f32_e32 v15, v2
	s_nop 0
	v_add_u32_e32 v20, -1, v15
	v_add_u32_e32 v21, 1, v15
	v_fma_f32 v22, -v20, v15, v2
	v_fma_f32 v23, -v21, v15, v2
	v_cmp_ge_f32_e64 s[0:1], 0, v22
	s_nop 1
	v_cndmask_b32_e64 v15, v15, v20, s[0:1]
	v_cmp_lt_f32_e64 s[0:1], 0, v23
	s_nop 1
	v_cndmask_b32_e64 v15, v15, v21, s[0:1]
	v_mul_f32_e32 v20, 0x37800000, v15
	v_cndmask_b32_e32 v15, v15, v20, vcc
	v_cmp_class_f32_e32 vcc, v2, v31
	s_nop 1
	v_cndmask_b32_e32 v2, v15, v2, vcc
	ds_write_b32 v34, v2 offset:1024
.LBB8_249:                              ;   in Loop: Header=BB8_26 Depth=2
	s_or_b64 exec, exec, s[20:21]
	s_waitcnt lgkmcnt(0)
	s_barrier
	ds_read2st64_b32 v[20:21], v34 offset0:4 offset1:8
	s_waitcnt lgkmcnt(0)
	v_ashrrev_i32_e32 v23, 31, v21
	v_mov_b32_e32 v22, v21
	v_lshlrev_b64 v[22:23], 2, v[22:23]
	v_lshl_add_u64 v[22:23], s[40:41], 0, v[22:23]
	global_load_dword v2, v[22:23], off offset:-4
	s_barrier
	s_and_saveexec_b64 s[0:1], s[8:9]
	s_cbranch_execz .LBB8_259
; %bb.250:                              ;   in Loop: Header=BB8_26 Depth=2
	s_waitcnt vmcnt(0)
	v_cmp_nle_f32_e32 vcc, 0, v2
	s_mov_b64 s[22:23], -1
	s_nop 0
	v_cndmask_b32_e64 v2, 1.0, -1.0, vcc
	v_div_scale_f32 v15, s[20:21], v20, v20, v2
	v_rcp_f32_e32 v21, v15
	v_div_scale_f32 v22, vcc, v2, v20, v2
	v_fma_f32 v23, -v15, v21, 1.0
	v_fmac_f32_e32 v21, v23, v21
	v_mul_f32_e32 v23, v22, v21
	v_fma_f32 v24, -v15, v23, v22
	v_fmac_f32_e32 v23, v24, v21
	v_fma_f32 v15, -v15, v23, v22
	v_div_fmas_f32 v15, v15, v21, v23
	v_div_fixup_f32 v20, v15, v20, v2
	v_mov_b32_e32 v2, v0
	v_mov_b64_e32 v[22:23], v[6:7]
	s_and_saveexec_b64 s[20:21], s[14:15]
	s_cbranch_execz .LBB8_256
; %bb.251:                              ;   in Loop: Header=BB8_26 Depth=2
	v_mov_b32_e32 v21, v20
	s_mov_b64 s[22:23], 0
	v_mov_b32_e32 v15, v40
	v_mov_b64_e32 v[22:23], v[0:1]
.LBB8_252:                              ;   Parent Loop BB8_17 Depth=1
                                        ;     Parent Loop BB8_26 Depth=2
                                        ; =>    This Inner Loop Header: Depth=3
	v_mov_b32_e32 v2, v22
	v_lshl_add_u64 v[24:25], v[2:3], 2, s[40:41]
	v_mov_b32_e32 v2, v23
	v_lshl_add_u64 v[26:27], v[2:3], 2, s[40:41]
	global_load_dword v42, v[24:25], off
	global_load_dword v43, v[26:27], off
	v_add_u32_e32 v15, -2, v15
	v_cmp_eq_u32_e32 vcc, 0, v15
	v_add_u32_e32 v22, 0x200, v22
	v_add_u32_e32 v23, 0x200, v23
	s_or_b64 s[22:23], vcc, s[22:23]
	s_waitcnt vmcnt(0)
	v_pk_mul_f32 v[42:43], v[20:21], v[42:43]
	global_store_dword v[24:25], v42, off
	global_store_dword v[26:27], v43, off
	s_andn2_b64 exec, exec, s[22:23]
	s_cbranch_execnz .LBB8_252
; %bb.253:                              ;   in Loop: Header=BB8_26 Depth=2
	s_or_b64 exec, exec, s[22:23]
	s_mov_b64 s[22:23], 0
                                        ; implicit-def: $vgpr22_vgpr23
	s_and_saveexec_b64 s[24:25], s[16:17]
; %bb.254:                              ;   in Loop: Header=BB8_26 Depth=2
	v_mov_b32_e32 v15, v3
	s_mov_b64 s[22:23], exec
	v_lshlrev_b64 v[22:23], 2, v[14:15]
; %bb.255:                              ;   in Loop: Header=BB8_26 Depth=2
	s_or_b64 exec, exec, s[24:25]
	s_orn2_b64 s[22:23], s[22:23], exec
	v_mov_b32_e32 v2, v14
.LBB8_256:                              ;   in Loop: Header=BB8_26 Depth=2
	s_or_b64 exec, exec, s[20:21]
	s_and_b64 exec, exec, s[22:23]
	s_cbranch_execz .LBB8_259
; %bb.257:                              ;   in Loop: Header=BB8_26 Depth=2
	v_lshl_add_u64 v[22:23], s[40:41], 0, v[22:23]
	s_mov_b64 s[20:21], 0
.LBB8_258:                              ;   Parent Loop BB8_17 Depth=1
                                        ;     Parent Loop BB8_26 Depth=2
                                        ; =>    This Inner Loop Header: Depth=3
	global_load_dword v15, v[22:23], off
	v_add_u32_e32 v2, 0x100, v2
	v_cmp_lt_i32_e32 vcc, s80, v2
	s_or_b64 s[20:21], vcc, s[20:21]
	s_waitcnt vmcnt(0)
	v_mul_f32_e32 v15, v20, v15
	global_store_dword v[22:23], v15, off
	v_lshl_add_u64 v[22:23], v[22:23], 0, s[72:73]
	s_andn2_b64 exec, exec, s[20:21]
	s_cbranch_execnz .LBB8_258
.LBB8_259:                              ;   in Loop: Header=BB8_26 Depth=2
	s_or_b64 exec, exec, s[0:1]
	s_barrier
	s_and_saveexec_b64 s[20:21], s[6:7]
	s_cbranch_execz .LBB8_264
.LBB8_260:                              ;   in Loop: Header=BB8_26 Depth=2
	s_mov_b64 s[22:23], 0
	v_mov_b32_e32 v15, v0
	s_branch .LBB8_262
.LBB8_261:                              ;   in Loop: Header=BB8_262 Depth=3
	s_or_b64 exec, exec, s[0:1]
	v_add_u32_e32 v20, s85, v15
	v_add_u32_e32 v15, 0x100, v15
	v_ashrrev_i32_e32 v21, 31, v20
	v_cmp_le_i32_e32 vcc, s44, v15
	v_lshl_add_u64 v[20:21], v[20:21], 2, s[46:47]
	s_or_b64 s[22:23], vcc, s[22:23]
	s_waitcnt vmcnt(0)
	global_store_dword v[20:21], v2, off
	s_andn2_b64 exec, exec, s[22:23]
	s_cbranch_execz .LBB8_264
.LBB8_262:                              ;   Parent Loop BB8_17 Depth=1
                                        ;     Parent Loop BB8_26 Depth=2
                                        ; =>    This Inner Loop Header: Depth=3
	v_cmp_le_i32_e32 vcc, s76, v15
	v_cmp_gt_i32_e64 s[0:1], s78, v15
	s_and_b64 s[24:25], vcc, s[0:1]
	s_waitcnt vmcnt(0)
	v_mov_b32_e32 v2, 0
	s_and_saveexec_b64 s[0:1], s[24:25]
	s_cbranch_execz .LBB8_261
; %bb.263:                              ;   in Loop: Header=BB8_262 Depth=3
	v_add_u32_e32 v2, s81, v15
	v_lshl_add_u64 v[20:21], v[2:3], 2, s[40:41]
	global_load_dword v2, v[20:21], off
	s_branch .LBB8_261
.LBB8_264:                              ;   in Loop: Header=BB8_26 Depth=2
	s_or_b64 exec, exec, s[20:21]
	s_add_i32 s84, s84, 1
	s_add_i32 s94, s94, 1
	;; [unrolled: 1-line block ×3, first 2 shown]
	s_cmp_ge_i32 s94, s26
	s_barrier
	s_cselect_b64 s[0:1], -1, 0
	s_mov_b32 s20, s39
	s_and_b64 vcc, exec, s[0:1]
	s_cbranch_vccnz .LBB8_15
.LBB8_265:                              ;   in Loop: Header=BB8_26 Depth=2
	s_waitcnt vmcnt(0)
	v_mov_b32_e32 v2, v35
	s_branch .LBB8_26
.LBB8_266:
	s_and_saveexec_b64 s[0:1], s[18:19]
	s_cbranch_execz .LBB8_268
; %bb.267:
	v_mov_b32_e32 v0, 0
	ds_read_b32 v1, v0
	v_readlane_b32 s4, v48, 2
	v_readlane_b32 s6, v48, 4
	;; [unrolled: 1-line block ×6, first 2 shown]
	s_mov_b64 s[6:7], s[10:11]
	v_readlane_b32 s1, v48, 1
	s_add_u32 s0, s6, s0
	s_addc_u32 s1, s7, s1
	v_readlane_b32 s5, v48, 3
	v_readlane_b32 s8, v48, 6
	v_readlane_b32 s9, v48, 7
	s_waitcnt lgkmcnt(0)
	global_store_dword v0, v1, s[0:1]
.LBB8_268:
	s_endpgm
	.section	.rodata,"a",@progbits
	.p2align	6, 0x0
	.amdhsa_kernel _ZN9rocsolver6v33100L12stein_kernelIffPfEEviPT0_lS4_lPiS4_lS5_lS5_lT1_iilS5_lS5_S4_S5_S3_S3_
		.amdhsa_group_segment_fixed_size 8
		.amdhsa_private_segment_fixed_size 0
		.amdhsa_kernarg_size 168
		.amdhsa_user_sgpr_count 2
		.amdhsa_user_sgpr_dispatch_ptr 0
		.amdhsa_user_sgpr_queue_ptr 0
		.amdhsa_user_sgpr_kernarg_segment_ptr 1
		.amdhsa_user_sgpr_dispatch_id 0
		.amdhsa_user_sgpr_kernarg_preload_length 0
		.amdhsa_user_sgpr_kernarg_preload_offset 0
		.amdhsa_user_sgpr_private_segment_size 0
		.amdhsa_uses_dynamic_stack 0
		.amdhsa_enable_private_segment 0
		.amdhsa_system_sgpr_workgroup_id_x 1
		.amdhsa_system_sgpr_workgroup_id_y 1
		.amdhsa_system_sgpr_workgroup_id_z 0
		.amdhsa_system_sgpr_workgroup_info 0
		.amdhsa_system_vgpr_workitem_id 0
		.amdhsa_next_free_vgpr 49
		.amdhsa_next_free_sgpr 100
		.amdhsa_accum_offset 52
		.amdhsa_reserve_vcc 1
		.amdhsa_float_round_mode_32 0
		.amdhsa_float_round_mode_16_64 0
		.amdhsa_float_denorm_mode_32 3
		.amdhsa_float_denorm_mode_16_64 3
		.amdhsa_dx10_clamp 1
		.amdhsa_ieee_mode 1
		.amdhsa_fp16_overflow 0
		.amdhsa_tg_split 0
		.amdhsa_exception_fp_ieee_invalid_op 0
		.amdhsa_exception_fp_denorm_src 0
		.amdhsa_exception_fp_ieee_div_zero 0
		.amdhsa_exception_fp_ieee_overflow 0
		.amdhsa_exception_fp_ieee_underflow 0
		.amdhsa_exception_fp_ieee_inexact 0
		.amdhsa_exception_int_div_zero 0
	.end_amdhsa_kernel
	.section	.text._ZN9rocsolver6v33100L12stein_kernelIffPfEEviPT0_lS4_lPiS4_lS5_lS5_lT1_iilS5_lS5_S4_S5_S3_S3_,"axG",@progbits,_ZN9rocsolver6v33100L12stein_kernelIffPfEEviPT0_lS4_lPiS4_lS5_lS5_lT1_iilS5_lS5_S4_S5_S3_S3_,comdat
.Lfunc_end8:
	.size	_ZN9rocsolver6v33100L12stein_kernelIffPfEEviPT0_lS4_lPiS4_lS5_lS5_lT1_iilS5_lS5_S4_S5_S3_S3_, .Lfunc_end8-_ZN9rocsolver6v33100L12stein_kernelIffPfEEviPT0_lS4_lPiS4_lS5_lS5_lT1_iilS5_lS5_S4_S5_S3_S3_
                                        ; -- End function
	.set _ZN9rocsolver6v33100L12stein_kernelIffPfEEviPT0_lS4_lPiS4_lS5_lS5_lT1_iilS5_lS5_S4_S5_S3_S3_.num_vgpr, 49
	.set _ZN9rocsolver6v33100L12stein_kernelIffPfEEviPT0_lS4_lPiS4_lS5_lS5_lT1_iilS5_lS5_S4_S5_S3_S3_.num_agpr, 0
	.set _ZN9rocsolver6v33100L12stein_kernelIffPfEEviPT0_lS4_lPiS4_lS5_lS5_lT1_iilS5_lS5_S4_S5_S3_S3_.numbered_sgpr, 100
	.set _ZN9rocsolver6v33100L12stein_kernelIffPfEEviPT0_lS4_lPiS4_lS5_lS5_lT1_iilS5_lS5_S4_S5_S3_S3_.num_named_barrier, 0
	.set _ZN9rocsolver6v33100L12stein_kernelIffPfEEviPT0_lS4_lPiS4_lS5_lS5_lT1_iilS5_lS5_S4_S5_S3_S3_.private_seg_size, 0
	.set _ZN9rocsolver6v33100L12stein_kernelIffPfEEviPT0_lS4_lPiS4_lS5_lS5_lT1_iilS5_lS5_S4_S5_S3_S3_.uses_vcc, 1
	.set _ZN9rocsolver6v33100L12stein_kernelIffPfEEviPT0_lS4_lPiS4_lS5_lS5_lT1_iilS5_lS5_S4_S5_S3_S3_.uses_flat_scratch, 0
	.set _ZN9rocsolver6v33100L12stein_kernelIffPfEEviPT0_lS4_lPiS4_lS5_lS5_lT1_iilS5_lS5_S4_S5_S3_S3_.has_dyn_sized_stack, 0
	.set _ZN9rocsolver6v33100L12stein_kernelIffPfEEviPT0_lS4_lPiS4_lS5_lS5_lT1_iilS5_lS5_S4_S5_S3_S3_.has_recursion, 0
	.set _ZN9rocsolver6v33100L12stein_kernelIffPfEEviPT0_lS4_lPiS4_lS5_lS5_lT1_iilS5_lS5_S4_S5_S3_S3_.has_indirect_call, 0
	.section	.AMDGPU.csdata,"",@progbits
; Kernel info:
; codeLenInByte = 9896
; TotalNumSgprs: 106
; NumVgprs: 49
; NumAgprs: 0
; TotalNumVgprs: 49
; ScratchSize: 0
; MemoryBound: 0
; FloatMode: 240
; IeeeMode: 1
; LDSByteSize: 8 bytes/workgroup (compile time only)
; SGPRBlocks: 13
; VGPRBlocks: 6
; NumSGPRsForWavesPerEU: 106
; NumVGPRsForWavesPerEU: 49
; AccumOffset: 52
; Occupancy: 7
; WaveLimiterHint : 1
; COMPUTE_PGM_RSRC2:SCRATCH_EN: 0
; COMPUTE_PGM_RSRC2:USER_SGPR: 2
; COMPUTE_PGM_RSRC2:TRAP_HANDLER: 0
; COMPUTE_PGM_RSRC2:TGID_X_EN: 1
; COMPUTE_PGM_RSRC2:TGID_Y_EN: 1
; COMPUTE_PGM_RSRC2:TGID_Z_EN: 0
; COMPUTE_PGM_RSRC2:TIDIG_COMP_CNT: 0
; COMPUTE_PGM_RSRC3_GFX90A:ACCUM_OFFSET: 12
; COMPUTE_PGM_RSRC3_GFX90A:TG_SPLIT: 0
	.text
	.p2align	2                               ; -- Begin function __ockl_fprintf_append_string_n
	.type	__ockl_fprintf_append_string_n,@function
__ockl_fprintf_append_string_n:         ; @__ockl_fprintf_append_string_n
; %bb.0:
	s_waitcnt vmcnt(0) expcnt(0) lgkmcnt(0)
	v_mov_b32_e32 v9, v3
	v_mov_b32_e32 v8, v2
	v_or_b32_e32 v2, 2, v0
	v_cmp_eq_u32_e32 vcc, 0, v6
	s_mov_b32 s18, 0
	s_mov_b64 s[2:3], 0
	v_cndmask_b32_e32 v0, v2, v0, vcc
	v_cmp_ne_u64_e32 vcc, 0, v[8:9]
	v_mbcnt_lo_u32_b32 v2, -1, 0
	s_and_saveexec_b64 s[0:1], vcc
	s_xor_b64 s[4:5], exec, s[0:1]
	s_cbranch_execz .LBB9_86
; %bb.1:
	s_load_dwordx2 s[6:7], s[8:9], 0x50
	v_and_b32_e32 v6, 2, v0
	v_mov_b32_e32 v27, 0
	v_and_b32_e32 v0, -3, v0
	v_mbcnt_hi_u32_b32 v28, -1, v2
	s_movk_i32 s19, 0x1e0
	v_mov_b32_e32 v36, 2
	v_mov_b32_e32 v37, 1
	s_branch .LBB9_3
.LBB9_2:                                ;   in Loop: Header=BB9_3 Depth=1
	s_or_b64 exec, exec, s[12:13]
	v_sub_co_u32_e32 v4, vcc, v4, v30
	v_lshl_add_u64 v[8:9], v[8:9], 0, v[30:31]
	s_nop 0
	v_subb_co_u32_e32 v5, vcc, v5, v31, vcc
	v_cmp_eq_u64_e32 vcc, 0, v[4:5]
	s_or_b64 s[2:3], vcc, s[2:3]
	s_andn2_b64 exec, exec, s[2:3]
	s_cbranch_execz .LBB9_85
.LBB9_3:                                ; =>This Loop Header: Depth=1
                                        ;     Child Loop BB9_6 Depth 2
                                        ;     Child Loop BB9_14 Depth 2
	;; [unrolled: 1-line block ×11, first 2 shown]
	v_cmp_gt_u64_e32 vcc, 56, v[4:5]
	v_lshl_add_u64 v[12:13], v[8:9], 0, 8
	s_nop 0
	v_cndmask_b32_e32 v31, 0, v5, vcc
	v_cndmask_b32_e32 v30, 56, v4, vcc
	v_cmp_gt_u64_e32 vcc, 8, v[4:5]
	s_and_saveexec_b64 s[0:1], vcc
	s_xor_b64 s[0:1], exec, s[0:1]
	s_cbranch_execz .LBB9_9
; %bb.4:                                ;   in Loop: Header=BB9_3 Depth=1
	s_waitcnt vmcnt(0)
	v_mov_b64_e32 v[2:3], 0
	v_cmp_ne_u64_e32 vcc, 0, v[4:5]
	s_and_saveexec_b64 s[10:11], vcc
	s_cbranch_execz .LBB9_8
; %bb.5:                                ;   in Loop: Header=BB9_3 Depth=1
	v_lshlrev_b64 v[10:11], 3, v[30:31]
	s_mov_b64 s[12:13], 0
	v_mov_b64_e32 v[2:3], 0
	v_mov_b64_e32 v[12:13], v[8:9]
	s_mov_b64 s[14:15], 0
.LBB9_6:                                ;   Parent Loop BB9_3 Depth=1
                                        ; =>  This Inner Loop Header: Depth=2
	global_load_ubyte v7, v[12:13], off
	v_mov_b32_e32 v15, s18
	v_lshl_add_u64 v[12:13], v[12:13], 0, 1
	s_waitcnt vmcnt(0)
	v_and_b32_e32 v14, 0xffff, v7
	v_lshlrev_b64 v[14:15], s14, v[14:15]
	s_add_u32 s14, s14, 8
	s_addc_u32 s15, s15, 0
	v_cmp_eq_u32_e32 vcc, s14, v10
	v_or_b32_e32 v3, v15, v3
	s_or_b64 s[12:13], vcc, s[12:13]
	v_or_b32_e32 v2, v14, v2
	s_andn2_b64 exec, exec, s[12:13]
	s_cbranch_execnz .LBB9_6
; %bb.7:                                ;   in Loop: Header=BB9_3 Depth=1
	s_or_b64 exec, exec, s[12:13]
.LBB9_8:                                ;   in Loop: Header=BB9_3 Depth=1
	s_or_b64 exec, exec, s[10:11]
	v_mov_b64_e32 v[12:13], v[8:9]
.LBB9_9:                                ;   in Loop: Header=BB9_3 Depth=1
	s_or_saveexec_b64 s[0:1], s[0:1]
	v_mov_b32_e32 v7, 0
	s_xor_b64 exec, exec, s[0:1]
	s_cbranch_execz .LBB9_11
; %bb.10:                               ;   in Loop: Header=BB9_3 Depth=1
	global_load_dwordx2 v[2:3], v[8:9], off
	v_add_u32_e32 v7, -8, v30
.LBB9_11:                               ;   in Loop: Header=BB9_3 Depth=1
	s_or_b64 exec, exec, s[0:1]
	v_cmp_gt_u32_e32 vcc, 8, v7
	v_lshl_add_u64 v[14:15], v[12:13], 0, 8
                                        ; implicit-def: $vgpr10_vgpr11
	s_and_saveexec_b64 s[0:1], vcc
	s_xor_b64 s[0:1], exec, s[0:1]
	s_cbranch_execz .LBB9_17
; %bb.12:                               ;   in Loop: Header=BB9_3 Depth=1
	v_cmp_ne_u32_e32 vcc, 0, v7
	v_mov_b64_e32 v[10:11], 0
	s_and_saveexec_b64 s[10:11], vcc
	s_cbranch_execz .LBB9_16
; %bb.13:                               ;   in Loop: Header=BB9_3 Depth=1
	s_mov_b64 s[12:13], 0
	v_mov_b64_e32 v[10:11], 0
	s_mov_b64 s[14:15], 0
	s_mov_b64 s[16:17], 0
.LBB9_14:                               ;   Parent Loop BB9_3 Depth=1
                                        ; =>  This Inner Loop Header: Depth=2
	v_lshl_add_u64 v[14:15], v[12:13], 0, s[16:17]
	global_load_ubyte v14, v[14:15], off
	s_add_u32 s16, s16, 1
	v_mov_b32_e32 v15, s18
	s_addc_u32 s17, s17, 0
	v_cmp_eq_u32_e32 vcc, s16, v7
	s_waitcnt vmcnt(0)
	v_and_b32_e32 v14, 0xffff, v14
	v_lshlrev_b64 v[14:15], s14, v[14:15]
	s_add_u32 s14, s14, 8
	s_addc_u32 s15, s15, 0
	v_or_b32_e32 v11, v15, v11
	s_or_b64 s[12:13], vcc, s[12:13]
	v_or_b32_e32 v10, v14, v10
	s_andn2_b64 exec, exec, s[12:13]
	s_cbranch_execnz .LBB9_14
; %bb.15:                               ;   in Loop: Header=BB9_3 Depth=1
	s_or_b64 exec, exec, s[12:13]
.LBB9_16:                               ;   in Loop: Header=BB9_3 Depth=1
	s_or_b64 exec, exec, s[10:11]
	v_mov_b64_e32 v[14:15], v[12:13]
                                        ; implicit-def: $vgpr7
.LBB9_17:                               ;   in Loop: Header=BB9_3 Depth=1
	s_or_saveexec_b64 s[0:1], s[0:1]
	v_mov_b32_e32 v18, 0
	s_xor_b64 exec, exec, s[0:1]
	s_cbranch_execz .LBB9_19
; %bb.18:                               ;   in Loop: Header=BB9_3 Depth=1
	global_load_dwordx2 v[10:11], v[12:13], off
	v_add_u32_e32 v18, -8, v7
.LBB9_19:                               ;   in Loop: Header=BB9_3 Depth=1
	s_or_b64 exec, exec, s[0:1]
	v_cmp_gt_u32_e32 vcc, 8, v18
	v_lshl_add_u64 v[16:17], v[14:15], 0, 8
	s_and_saveexec_b64 s[0:1], vcc
	s_xor_b64 s[0:1], exec, s[0:1]
	s_cbranch_execz .LBB9_25
; %bb.20:                               ;   in Loop: Header=BB9_3 Depth=1
	v_cmp_ne_u32_e32 vcc, 0, v18
	v_mov_b64_e32 v[12:13], 0
	s_and_saveexec_b64 s[10:11], vcc
	s_cbranch_execz .LBB9_24
; %bb.21:                               ;   in Loop: Header=BB9_3 Depth=1
	s_mov_b64 s[12:13], 0
	v_mov_b64_e32 v[12:13], 0
	s_mov_b64 s[14:15], 0
	s_mov_b64 s[16:17], 0
.LBB9_22:                               ;   Parent Loop BB9_3 Depth=1
                                        ; =>  This Inner Loop Header: Depth=2
	v_lshl_add_u64 v[16:17], v[14:15], 0, s[16:17]
	global_load_ubyte v7, v[16:17], off
	s_add_u32 s16, s16, 1
	v_mov_b32_e32 v17, s18
	s_addc_u32 s17, s17, 0
	v_cmp_eq_u32_e32 vcc, s16, v18
	s_waitcnt vmcnt(0)
	v_and_b32_e32 v16, 0xffff, v7
	v_lshlrev_b64 v[16:17], s14, v[16:17]
	s_add_u32 s14, s14, 8
	s_addc_u32 s15, s15, 0
	v_or_b32_e32 v13, v17, v13
	s_or_b64 s[12:13], vcc, s[12:13]
	v_or_b32_e32 v12, v16, v12
	s_andn2_b64 exec, exec, s[12:13]
	s_cbranch_execnz .LBB9_22
; %bb.23:                               ;   in Loop: Header=BB9_3 Depth=1
	s_or_b64 exec, exec, s[12:13]
.LBB9_24:                               ;   in Loop: Header=BB9_3 Depth=1
	s_or_b64 exec, exec, s[10:11]
	v_mov_b64_e32 v[16:17], v[14:15]
                                        ; implicit-def: $vgpr18
.LBB9_25:                               ;   in Loop: Header=BB9_3 Depth=1
	s_or_saveexec_b64 s[0:1], s[0:1]
	v_mov_b32_e32 v7, 0
	s_xor_b64 exec, exec, s[0:1]
	s_cbranch_execz .LBB9_27
; %bb.26:                               ;   in Loop: Header=BB9_3 Depth=1
	global_load_dwordx2 v[12:13], v[14:15], off
	v_add_u32_e32 v7, -8, v18
.LBB9_27:                               ;   in Loop: Header=BB9_3 Depth=1
	s_or_b64 exec, exec, s[0:1]
	v_cmp_gt_u32_e32 vcc, 8, v7
	v_lshl_add_u64 v[18:19], v[16:17], 0, 8
                                        ; implicit-def: $vgpr14_vgpr15
	s_and_saveexec_b64 s[0:1], vcc
	s_xor_b64 s[0:1], exec, s[0:1]
	s_cbranch_execz .LBB9_33
; %bb.28:                               ;   in Loop: Header=BB9_3 Depth=1
	v_cmp_ne_u32_e32 vcc, 0, v7
	v_mov_b64_e32 v[14:15], 0
	s_and_saveexec_b64 s[10:11], vcc
	s_cbranch_execz .LBB9_32
; %bb.29:                               ;   in Loop: Header=BB9_3 Depth=1
	s_mov_b64 s[12:13], 0
	v_mov_b64_e32 v[14:15], 0
	s_mov_b64 s[14:15], 0
	s_mov_b64 s[16:17], 0
.LBB9_30:                               ;   Parent Loop BB9_3 Depth=1
                                        ; =>  This Inner Loop Header: Depth=2
	v_lshl_add_u64 v[18:19], v[16:17], 0, s[16:17]
	global_load_ubyte v18, v[18:19], off
	s_add_u32 s16, s16, 1
	v_mov_b32_e32 v19, s18
	s_addc_u32 s17, s17, 0
	v_cmp_eq_u32_e32 vcc, s16, v7
	s_waitcnt vmcnt(0)
	v_and_b32_e32 v18, 0xffff, v18
	v_lshlrev_b64 v[18:19], s14, v[18:19]
	s_add_u32 s14, s14, 8
	s_addc_u32 s15, s15, 0
	v_or_b32_e32 v15, v19, v15
	s_or_b64 s[12:13], vcc, s[12:13]
	v_or_b32_e32 v14, v18, v14
	s_andn2_b64 exec, exec, s[12:13]
	s_cbranch_execnz .LBB9_30
; %bb.31:                               ;   in Loop: Header=BB9_3 Depth=1
	s_or_b64 exec, exec, s[12:13]
.LBB9_32:                               ;   in Loop: Header=BB9_3 Depth=1
	s_or_b64 exec, exec, s[10:11]
	v_mov_b64_e32 v[18:19], v[16:17]
                                        ; implicit-def: $vgpr7
.LBB9_33:                               ;   in Loop: Header=BB9_3 Depth=1
	s_or_saveexec_b64 s[0:1], s[0:1]
	v_mov_b32_e32 v22, 0
	s_xor_b64 exec, exec, s[0:1]
	s_cbranch_execz .LBB9_35
; %bb.34:                               ;   in Loop: Header=BB9_3 Depth=1
	global_load_dwordx2 v[14:15], v[16:17], off
	v_add_u32_e32 v22, -8, v7
.LBB9_35:                               ;   in Loop: Header=BB9_3 Depth=1
	s_or_b64 exec, exec, s[0:1]
	v_cmp_gt_u32_e32 vcc, 8, v22
	v_lshl_add_u64 v[20:21], v[18:19], 0, 8
	s_and_saveexec_b64 s[0:1], vcc
	s_xor_b64 s[0:1], exec, s[0:1]
	s_cbranch_execz .LBB9_41
; %bb.36:                               ;   in Loop: Header=BB9_3 Depth=1
	v_cmp_ne_u32_e32 vcc, 0, v22
	v_mov_b64_e32 v[16:17], 0
	s_and_saveexec_b64 s[10:11], vcc
	s_cbranch_execz .LBB9_40
; %bb.37:                               ;   in Loop: Header=BB9_3 Depth=1
	s_mov_b64 s[12:13], 0
	v_mov_b64_e32 v[16:17], 0
	s_mov_b64 s[14:15], 0
	s_mov_b64 s[16:17], 0
.LBB9_38:                               ;   Parent Loop BB9_3 Depth=1
                                        ; =>  This Inner Loop Header: Depth=2
	v_lshl_add_u64 v[20:21], v[18:19], 0, s[16:17]
	global_load_ubyte v7, v[20:21], off
	s_add_u32 s16, s16, 1
	v_mov_b32_e32 v21, s18
	s_addc_u32 s17, s17, 0
	v_cmp_eq_u32_e32 vcc, s16, v22
	s_waitcnt vmcnt(0)
	v_and_b32_e32 v20, 0xffff, v7
	v_lshlrev_b64 v[20:21], s14, v[20:21]
	s_add_u32 s14, s14, 8
	s_addc_u32 s15, s15, 0
	v_or_b32_e32 v17, v21, v17
	s_or_b64 s[12:13], vcc, s[12:13]
	v_or_b32_e32 v16, v20, v16
	s_andn2_b64 exec, exec, s[12:13]
	s_cbranch_execnz .LBB9_38
; %bb.39:                               ;   in Loop: Header=BB9_3 Depth=1
	s_or_b64 exec, exec, s[12:13]
.LBB9_40:                               ;   in Loop: Header=BB9_3 Depth=1
	s_or_b64 exec, exec, s[10:11]
	v_mov_b64_e32 v[20:21], v[18:19]
                                        ; implicit-def: $vgpr22
.LBB9_41:                               ;   in Loop: Header=BB9_3 Depth=1
	s_or_saveexec_b64 s[0:1], s[0:1]
	v_mov_b32_e32 v7, 0
	s_xor_b64 exec, exec, s[0:1]
	s_cbranch_execz .LBB9_43
; %bb.42:                               ;   in Loop: Header=BB9_3 Depth=1
	global_load_dwordx2 v[16:17], v[18:19], off
	v_add_u32_e32 v7, -8, v22
.LBB9_43:                               ;   in Loop: Header=BB9_3 Depth=1
	s_or_b64 exec, exec, s[0:1]
	v_cmp_gt_u32_e32 vcc, 8, v7
	v_lshl_add_u64 v[22:23], v[20:21], 0, 8
                                        ; implicit-def: $vgpr18_vgpr19
	s_and_saveexec_b64 s[0:1], vcc
	s_xor_b64 s[0:1], exec, s[0:1]
	s_cbranch_execz .LBB9_49
; %bb.44:                               ;   in Loop: Header=BB9_3 Depth=1
	v_cmp_ne_u32_e32 vcc, 0, v7
	v_mov_b64_e32 v[18:19], 0
	s_and_saveexec_b64 s[10:11], vcc
	s_cbranch_execz .LBB9_48
; %bb.45:                               ;   in Loop: Header=BB9_3 Depth=1
	s_mov_b64 s[12:13], 0
	v_mov_b64_e32 v[18:19], 0
	s_mov_b64 s[14:15], 0
	s_mov_b64 s[16:17], 0
.LBB9_46:                               ;   Parent Loop BB9_3 Depth=1
                                        ; =>  This Inner Loop Header: Depth=2
	v_lshl_add_u64 v[22:23], v[20:21], 0, s[16:17]
	global_load_ubyte v22, v[22:23], off
	s_add_u32 s16, s16, 1
	v_mov_b32_e32 v23, s18
	s_addc_u32 s17, s17, 0
	v_cmp_eq_u32_e32 vcc, s16, v7
	s_waitcnt vmcnt(0)
	v_and_b32_e32 v22, 0xffff, v22
	v_lshlrev_b64 v[22:23], s14, v[22:23]
	s_add_u32 s14, s14, 8
	s_addc_u32 s15, s15, 0
	v_or_b32_e32 v19, v23, v19
	s_or_b64 s[12:13], vcc, s[12:13]
	v_or_b32_e32 v18, v22, v18
	s_andn2_b64 exec, exec, s[12:13]
	s_cbranch_execnz .LBB9_46
; %bb.47:                               ;   in Loop: Header=BB9_3 Depth=1
	s_or_b64 exec, exec, s[12:13]
.LBB9_48:                               ;   in Loop: Header=BB9_3 Depth=1
	s_or_b64 exec, exec, s[10:11]
	v_mov_b64_e32 v[22:23], v[20:21]
                                        ; implicit-def: $vgpr7
.LBB9_49:                               ;   in Loop: Header=BB9_3 Depth=1
	s_or_saveexec_b64 s[0:1], s[0:1]
	v_mov_b32_e32 v24, 0
	s_xor_b64 exec, exec, s[0:1]
	s_cbranch_execz .LBB9_51
; %bb.50:                               ;   in Loop: Header=BB9_3 Depth=1
	global_load_dwordx2 v[18:19], v[20:21], off
	v_add_u32_e32 v24, -8, v7
.LBB9_51:                               ;   in Loop: Header=BB9_3 Depth=1
	s_or_b64 exec, exec, s[0:1]
	v_cmp_gt_u32_e32 vcc, 8, v24
	s_and_saveexec_b64 s[0:1], vcc
	s_xor_b64 s[0:1], exec, s[0:1]
	s_cbranch_execz .LBB9_57
; %bb.52:                               ;   in Loop: Header=BB9_3 Depth=1
	v_cmp_ne_u32_e32 vcc, 0, v24
	v_mov_b64_e32 v[20:21], 0
	s_and_saveexec_b64 s[10:11], vcc
	s_cbranch_execz .LBB9_56
; %bb.53:                               ;   in Loop: Header=BB9_3 Depth=1
	s_mov_b64 s[12:13], 0
	v_mov_b64_e32 v[20:21], 0
	s_mov_b64 s[14:15], 0
.LBB9_54:                               ;   Parent Loop BB9_3 Depth=1
                                        ; =>  This Inner Loop Header: Depth=2
	global_load_ubyte v7, v[22:23], off
	v_mov_b32_e32 v33, s18
	v_add_u32_e32 v24, -1, v24
	v_cmp_eq_u32_e32 vcc, 0, v24
	v_lshl_add_u64 v[22:23], v[22:23], 0, 1
	s_waitcnt vmcnt(0)
	v_and_b32_e32 v32, 0xffff, v7
	v_lshlrev_b64 v[32:33], s14, v[32:33]
	s_add_u32 s14, s14, 8
	s_addc_u32 s15, s15, 0
	v_or_b32_e32 v21, v33, v21
	s_or_b64 s[12:13], vcc, s[12:13]
	v_or_b32_e32 v20, v32, v20
	s_andn2_b64 exec, exec, s[12:13]
	s_cbranch_execnz .LBB9_54
; %bb.55:                               ;   in Loop: Header=BB9_3 Depth=1
	s_or_b64 exec, exec, s[12:13]
.LBB9_56:                               ;   in Loop: Header=BB9_3 Depth=1
	s_or_b64 exec, exec, s[10:11]
                                        ; implicit-def: $vgpr22_vgpr23
.LBB9_57:                               ;   in Loop: Header=BB9_3 Depth=1
	s_andn2_saveexec_b64 s[0:1], s[0:1]
	s_cbranch_execz .LBB9_59
; %bb.58:                               ;   in Loop: Header=BB9_3 Depth=1
	global_load_dwordx2 v[20:21], v[22:23], off
.LBB9_59:                               ;   in Loop: Header=BB9_3 Depth=1
	s_or_b64 exec, exec, s[0:1]
	v_readfirstlane_b32 s0, v28
	v_mov_b64_e32 v[32:33], 0
	s_nop 0
	v_cmp_eq_u32_e64 s[0:1], s0, v28
	s_and_saveexec_b64 s[10:11], s[0:1]
	s_cbranch_execz .LBB9_65
; %bb.60:                               ;   in Loop: Header=BB9_3 Depth=1
	s_waitcnt lgkmcnt(0)
	global_load_dwordx2 v[24:25], v27, s[6:7] offset:24 sc0 sc1
	s_waitcnt vmcnt(0)
	buffer_inv sc0 sc1
	global_load_dwordx2 v[22:23], v27, s[6:7] offset:40
	global_load_dwordx2 v[32:33], v27, s[6:7]
	s_waitcnt vmcnt(1)
	v_and_b32_e32 v7, v22, v24
	v_and_b32_e32 v22, v23, v25
	v_mul_lo_u32 v22, v22, 24
	v_mul_hi_u32 v23, v7, 24
	v_add_u32_e32 v23, v23, v22
	v_mul_lo_u32 v22, v7, 24
	s_waitcnt vmcnt(0)
	v_lshl_add_u64 v[22:23], v[32:33], 0, v[22:23]
	global_load_dwordx2 v[22:23], v[22:23], off sc0 sc1
	s_waitcnt vmcnt(0)
	global_atomic_cmpswap_x2 v[32:33], v27, v[22:25], s[6:7] offset:24 sc0 sc1
	s_waitcnt vmcnt(0)
	buffer_inv sc0 sc1
	v_cmp_ne_u64_e32 vcc, v[32:33], v[24:25]
	s_and_saveexec_b64 s[12:13], vcc
	s_cbranch_execz .LBB9_64
; %bb.61:                               ;   in Loop: Header=BB9_3 Depth=1
	s_mov_b64 s[14:15], 0
.LBB9_62:                               ;   Parent Loop BB9_3 Depth=1
                                        ; =>  This Inner Loop Header: Depth=2
	s_sleep 1
	global_load_dwordx2 v[22:23], v27, s[6:7] offset:40
	global_load_dwordx2 v[34:35], v27, s[6:7]
	v_mov_b64_e32 v[24:25], v[32:33]
	s_waitcnt vmcnt(1)
	v_and_b32_e32 v22, v22, v24
	v_and_b32_e32 v7, v23, v25
	s_waitcnt vmcnt(0)
	v_mad_u64_u32 v[22:23], s[16:17], v22, 24, v[34:35]
	v_mov_b32_e32 v26, v23
	v_mad_u64_u32 v[32:33], s[16:17], v7, 24, v[26:27]
	v_mov_b32_e32 v23, v32
	global_load_dwordx2 v[22:23], v[22:23], off sc0 sc1
	s_waitcnt vmcnt(0)
	global_atomic_cmpswap_x2 v[32:33], v27, v[22:25], s[6:7] offset:24 sc0 sc1
	s_waitcnt vmcnt(0)
	buffer_inv sc0 sc1
	v_cmp_eq_u64_e32 vcc, v[32:33], v[24:25]
	s_or_b64 s[14:15], vcc, s[14:15]
	s_andn2_b64 exec, exec, s[14:15]
	s_cbranch_execnz .LBB9_62
; %bb.63:                               ;   in Loop: Header=BB9_3 Depth=1
	s_or_b64 exec, exec, s[14:15]
.LBB9_64:                               ;   in Loop: Header=BB9_3 Depth=1
	s_or_b64 exec, exec, s[12:13]
.LBB9_65:                               ;   in Loop: Header=BB9_3 Depth=1
	s_or_b64 exec, exec, s[10:11]
	s_waitcnt lgkmcnt(0)
	global_load_dwordx2 v[34:35], v27, s[6:7] offset:40
	global_load_dwordx4 v[22:25], v27, s[6:7]
	v_readfirstlane_b32 s11, v33
	v_readfirstlane_b32 s10, v32
	s_mov_b64 s[12:13], exec
	s_waitcnt vmcnt(1)
	v_readfirstlane_b32 s14, v34
	v_readfirstlane_b32 s15, v35
	s_and_b64 s[14:15], s[14:15], s[10:11]
	s_mul_i32 s16, s15, 24
	s_mul_hi_u32 s17, s14, 24
	s_add_i32 s17, s17, s16
	s_mul_i32 s16, s14, 24
	s_waitcnt vmcnt(0)
	v_lshl_add_u64 v[32:33], v[22:23], 0, s[16:17]
	s_and_saveexec_b64 s[16:17], s[0:1]
	s_cbranch_execz .LBB9_67
; %bb.66:                               ;   in Loop: Header=BB9_3 Depth=1
	v_mov_b64_e32 v[34:35], s[12:13]
	global_store_dwordx4 v[32:33], v[34:37], off offset:8
.LBB9_67:                               ;   in Loop: Header=BB9_3 Depth=1
	s_or_b64 exec, exec, s[16:17]
	v_cmp_gt_u64_e32 vcc, 57, v[4:5]
	s_lshl_b64 s[12:13], s[14:15], 12
	v_and_b32_e32 v0, 0xffffff1f, v0
	v_cndmask_b32_e32 v7, 0, v6, vcc
	v_lshl_add_u64 v[24:25], v[24:25], 0, s[12:13]
	v_lshl_add_u32 v26, v30, 2, 28
	v_or_b32_e32 v0, v0, v7
	v_and_or_b32 v0, v26, s19, v0
	v_lshlrev_b32_e32 v26, 6, v28
	v_readfirstlane_b32 s12, v24
	v_readfirstlane_b32 s13, v25
	s_nop 4
	global_store_dwordx4 v26, v[0:3], s[12:13]
	global_store_dwordx4 v26, v[10:13], s[12:13] offset:16
	global_store_dwordx4 v26, v[14:17], s[12:13] offset:32
	;; [unrolled: 1-line block ×3, first 2 shown]
	s_and_saveexec_b64 s[12:13], s[0:1]
	s_cbranch_execz .LBB9_75
; %bb.68:                               ;   in Loop: Header=BB9_3 Depth=1
	global_load_dwordx2 v[14:15], v27, s[6:7] offset:32 sc0 sc1
	global_load_dwordx2 v[0:1], v27, s[6:7] offset:40
	v_mov_b32_e32 v12, s10
	v_mov_b32_e32 v13, s11
	s_waitcnt vmcnt(0)
	v_readfirstlane_b32 s14, v0
	v_readfirstlane_b32 s15, v1
	s_and_b64 s[14:15], s[14:15], s[10:11]
	s_mul_i32 s15, s15, 24
	s_mul_hi_u32 s16, s14, 24
	s_mul_i32 s14, s14, 24
	s_add_i32 s15, s16, s15
	v_lshl_add_u64 v[10:11], v[22:23], 0, s[14:15]
	global_store_dwordx2 v[10:11], v[14:15], off
	buffer_wbl2 sc0 sc1
	s_waitcnt vmcnt(0)
	global_atomic_cmpswap_x2 v[2:3], v27, v[12:15], s[6:7] offset:32 sc0 sc1
	s_waitcnt vmcnt(0)
	v_cmp_ne_u64_e32 vcc, v[2:3], v[14:15]
	s_and_saveexec_b64 s[14:15], vcc
	s_cbranch_execz .LBB9_71
; %bb.69:                               ;   in Loop: Header=BB9_3 Depth=1
	s_mov_b64 s[16:17], 0
.LBB9_70:                               ;   Parent Loop BB9_3 Depth=1
                                        ; =>  This Inner Loop Header: Depth=2
	s_sleep 1
	global_store_dwordx2 v[10:11], v[2:3], off
	v_mov_b32_e32 v0, s10
	v_mov_b32_e32 v1, s11
	buffer_wbl2 sc0 sc1
	s_waitcnt vmcnt(0)
	global_atomic_cmpswap_x2 v[0:1], v27, v[0:3], s[6:7] offset:32 sc0 sc1
	s_waitcnt vmcnt(0)
	v_cmp_eq_u64_e32 vcc, v[0:1], v[2:3]
	s_or_b64 s[16:17], vcc, s[16:17]
	v_mov_b64_e32 v[2:3], v[0:1]
	s_andn2_b64 exec, exec, s[16:17]
	s_cbranch_execnz .LBB9_70
.LBB9_71:                               ;   in Loop: Header=BB9_3 Depth=1
	s_or_b64 exec, exec, s[14:15]
	global_load_dwordx2 v[0:1], v27, s[6:7] offset:16
	s_mov_b64 s[16:17], exec
	v_mbcnt_lo_u32_b32 v2, s16, 0
	v_mbcnt_hi_u32_b32 v2, s17, v2
	v_cmp_eq_u32_e32 vcc, 0, v2
	s_and_saveexec_b64 s[14:15], vcc
	s_cbranch_execz .LBB9_73
; %bb.72:                               ;   in Loop: Header=BB9_3 Depth=1
	s_bcnt1_i32_b64 s16, s[16:17]
	v_mov_b32_e32 v2, s16
	v_mov_b32_e32 v3, v27
	buffer_wbl2 sc0 sc1
	s_waitcnt vmcnt(0)
	global_atomic_add_x2 v[0:1], v[2:3], off offset:8 sc1
.LBB9_73:                               ;   in Loop: Header=BB9_3 Depth=1
	s_or_b64 exec, exec, s[14:15]
	s_waitcnt vmcnt(0)
	global_load_dwordx2 v[2:3], v[0:1], off offset:16
	s_waitcnt vmcnt(0)
	v_cmp_eq_u64_e32 vcc, 0, v[2:3]
	s_cbranch_vccnz .LBB9_75
; %bb.74:                               ;   in Loop: Header=BB9_3 Depth=1
	global_load_dword v0, v[0:1], off offset:24
	v_mov_b32_e32 v1, v27
	s_waitcnt vmcnt(0)
	v_readfirstlane_b32 s14, v0
	s_and_b32 m0, s14, 0xffffff
	buffer_wbl2 sc0 sc1
	global_store_dwordx2 v[2:3], v[0:1], off sc0 sc1
	s_sendmsg sendmsg(MSG_INTERRUPT)
.LBB9_75:                               ;   in Loop: Header=BB9_3 Depth=1
	s_or_b64 exec, exec, s[12:13]
	v_lshl_add_u64 v[0:1], v[24:25], 0, v[26:27]
	s_branch .LBB9_79
.LBB9_76:                               ;   in Loop: Header=BB9_79 Depth=2
	s_or_b64 exec, exec, s[12:13]
	v_readfirstlane_b32 s12, v2
	s_cmp_eq_u32 s12, 0
	s_cbranch_scc1 .LBB9_78
; %bb.77:                               ;   in Loop: Header=BB9_79 Depth=2
	s_sleep 1
	s_cbranch_execnz .LBB9_79
	s_branch .LBB9_81
.LBB9_78:                               ;   in Loop: Header=BB9_3 Depth=1
	s_branch .LBB9_81
.LBB9_79:                               ;   Parent Loop BB9_3 Depth=1
                                        ; =>  This Inner Loop Header: Depth=2
	v_mov_b32_e32 v2, 1
	s_and_saveexec_b64 s[12:13], s[0:1]
	s_cbranch_execz .LBB9_76
; %bb.80:                               ;   in Loop: Header=BB9_79 Depth=2
	global_load_dword v2, v[32:33], off offset:20 sc0 sc1
	s_waitcnt vmcnt(0)
	buffer_inv sc0 sc1
	v_and_b32_e32 v2, 1, v2
	s_branch .LBB9_76
.LBB9_81:                               ;   in Loop: Header=BB9_3 Depth=1
	global_load_dwordx4 v[0:3], v[0:1], off
	s_and_saveexec_b64 s[12:13], s[0:1]
	s_cbranch_execz .LBB9_2
; %bb.82:                               ;   in Loop: Header=BB9_3 Depth=1
	global_load_dwordx2 v[2:3], v27, s[6:7] offset:40
	global_load_dwordx2 v[14:15], v27, s[6:7] offset:24 sc0 sc1
	global_load_dwordx2 v[10:11], v27, s[6:7]
	s_waitcnt vmcnt(2)
	v_readfirstlane_b32 s14, v2
	v_readfirstlane_b32 s15, v3
	s_add_u32 s16, s14, 1
	s_addc_u32 s17, s15, 0
	s_add_u32 s0, s16, s10
	s_addc_u32 s1, s17, s11
	s_cmp_eq_u64 s[0:1], 0
	s_cselect_b32 s1, s17, s1
	s_cselect_b32 s0, s16, s0
	s_and_b64 s[10:11], s[0:1], s[14:15]
	s_mul_i32 s11, s11, 24
	s_mul_hi_u32 s14, s10, 24
	s_mul_i32 s10, s10, 24
	s_add_i32 s11, s14, s11
	s_waitcnt vmcnt(0)
	v_lshl_add_u64 v[2:3], v[10:11], 0, s[10:11]
	v_mov_b32_e32 v12, s0
	global_store_dwordx2 v[2:3], v[14:15], off
	v_mov_b32_e32 v13, s1
	buffer_wbl2 sc0 sc1
	s_waitcnt vmcnt(0)
	global_atomic_cmpswap_x2 v[12:13], v27, v[12:15], s[6:7] offset:24 sc0 sc1
	s_waitcnt vmcnt(0)
	v_cmp_ne_u64_e32 vcc, v[12:13], v[14:15]
	s_and_b64 exec, exec, vcc
	s_cbranch_execz .LBB9_2
; %bb.83:                               ;   in Loop: Header=BB9_3 Depth=1
	s_mov_b64 s[10:11], 0
.LBB9_84:                               ;   Parent Loop BB9_3 Depth=1
                                        ; =>  This Inner Loop Header: Depth=2
	s_sleep 1
	global_store_dwordx2 v[2:3], v[12:13], off
	v_mov_b32_e32 v10, s0
	v_mov_b32_e32 v11, s1
	buffer_wbl2 sc0 sc1
	s_waitcnt vmcnt(0)
	global_atomic_cmpswap_x2 v[10:11], v27, v[10:13], s[6:7] offset:24 sc0 sc1
	s_waitcnt vmcnt(0)
	v_cmp_eq_u64_e32 vcc, v[10:11], v[12:13]
	s_or_b64 s[10:11], vcc, s[10:11]
	v_mov_b64_e32 v[12:13], v[10:11]
	s_andn2_b64 exec, exec, s[10:11]
	s_cbranch_execnz .LBB9_84
	s_branch .LBB9_2
.LBB9_85:
	s_or_b64 exec, exec, s[2:3]
                                        ; implicit-def: $vgpr0
                                        ; implicit-def: $vgpr1
                                        ; implicit-def: $vgpr2
.LBB9_86:
	s_andn2_saveexec_b64 s[2:3], s[4:5]
	s_cbranch_execz .LBB9_109
; %bb.87:
	s_load_dwordx2 s[4:5], s[8:9], 0x50
	s_waitcnt vmcnt(0)
	v_mbcnt_hi_u32_b32 v3, -1, v2
	v_mov_b64_e32 v[8:9], 0
	v_readfirstlane_b32 s0, v3
	s_nop 1
	v_cmp_eq_u32_e64 s[0:1], s0, v3
	s_and_saveexec_b64 s[6:7], s[0:1]
	s_cbranch_execz .LBB9_93
; %bb.88:
	v_mov_b32_e32 v2, 0
	s_waitcnt lgkmcnt(0)
	global_load_dwordx2 v[6:7], v2, s[4:5] offset:24 sc0 sc1
	s_waitcnt vmcnt(0)
	buffer_inv sc0 sc1
	global_load_dwordx2 v[4:5], v2, s[4:5] offset:40
	global_load_dwordx2 v[8:9], v2, s[4:5]
	s_waitcnt vmcnt(1)
	v_and_b32_e32 v4, v4, v6
	v_and_b32_e32 v5, v5, v7
	v_mul_lo_u32 v5, v5, 24
	v_mul_hi_u32 v10, v4, 24
	v_add_u32_e32 v5, v10, v5
	v_mul_lo_u32 v4, v4, 24
	s_waitcnt vmcnt(0)
	v_lshl_add_u64 v[4:5], v[8:9], 0, v[4:5]
	global_load_dwordx2 v[4:5], v[4:5], off sc0 sc1
	s_waitcnt vmcnt(0)
	global_atomic_cmpswap_x2 v[8:9], v2, v[4:7], s[4:5] offset:24 sc0 sc1
	s_waitcnt vmcnt(0)
	buffer_inv sc0 sc1
	v_cmp_ne_u64_e32 vcc, v[8:9], v[6:7]
	s_and_saveexec_b64 s[8:9], vcc
	s_cbranch_execz .LBB9_92
; %bb.89:
	s_mov_b64 s[10:11], 0
.LBB9_90:                               ; =>This Inner Loop Header: Depth=1
	s_sleep 1
	global_load_dwordx2 v[4:5], v2, s[4:5] offset:40
	global_load_dwordx2 v[10:11], v2, s[4:5]
	v_mov_b64_e32 v[6:7], v[8:9]
	s_waitcnt vmcnt(1)
	v_and_b32_e32 v4, v4, v6
	v_and_b32_e32 v9, v5, v7
	s_waitcnt vmcnt(0)
	v_mad_u64_u32 v[4:5], s[12:13], v4, 24, v[10:11]
	v_mov_b32_e32 v8, v5
	v_mad_u64_u32 v[8:9], s[12:13], v9, 24, v[8:9]
	v_mov_b32_e32 v5, v8
	global_load_dwordx2 v[4:5], v[4:5], off sc0 sc1
	s_waitcnt vmcnt(0)
	global_atomic_cmpswap_x2 v[8:9], v2, v[4:7], s[4:5] offset:24 sc0 sc1
	s_waitcnt vmcnt(0)
	buffer_inv sc0 sc1
	v_cmp_eq_u64_e32 vcc, v[8:9], v[6:7]
	s_or_b64 s[10:11], vcc, s[10:11]
	s_andn2_b64 exec, exec, s[10:11]
	s_cbranch_execnz .LBB9_90
; %bb.91:
	s_or_b64 exec, exec, s[10:11]
.LBB9_92:
	s_or_b64 exec, exec, s[8:9]
.LBB9_93:
	s_or_b64 exec, exec, s[6:7]
	v_mov_b32_e32 v2, 0
	s_waitcnt lgkmcnt(0)
	global_load_dwordx2 v[10:11], v2, s[4:5] offset:40
	global_load_dwordx4 v[4:7], v2, s[4:5]
	v_readfirstlane_b32 s7, v9
	v_readfirstlane_b32 s6, v8
	s_mov_b64 s[8:9], exec
	s_waitcnt vmcnt(1)
	v_readfirstlane_b32 s10, v10
	v_readfirstlane_b32 s11, v11
	s_and_b64 s[10:11], s[10:11], s[6:7]
	s_mul_i32 s12, s11, 24
	s_mul_hi_u32 s13, s10, 24
	s_add_i32 s13, s13, s12
	s_mul_i32 s12, s10, 24
	s_waitcnt vmcnt(0)
	v_lshl_add_u64 v[8:9], v[4:5], 0, s[12:13]
	s_and_saveexec_b64 s[12:13], s[0:1]
	s_cbranch_execz .LBB9_95
; %bb.94:
	v_mov_b64_e32 v[10:11], s[8:9]
	v_mov_b32_e32 v12, 2
	v_mov_b32_e32 v13, 1
	global_store_dwordx4 v[8:9], v[10:13], off offset:8
.LBB9_95:
	s_or_b64 exec, exec, s[12:13]
	s_lshl_b64 s[8:9], s[10:11], 12
	v_lshl_add_u64 v[6:7], v[6:7], 0, s[8:9]
	s_movk_i32 s8, 0xff1f
	v_and_or_b32 v0, v0, s8, 32
	s_mov_b32 s8, 0
	v_lshlrev_b32_e32 v10, 6, v3
	v_mov_b32_e32 v3, v2
	v_readfirstlane_b32 s12, v6
	v_readfirstlane_b32 s13, v7
	s_mov_b32 s9, s8
	s_mov_b32 s10, s8
	;; [unrolled: 1-line block ×3, first 2 shown]
	s_nop 1
	global_store_dwordx4 v10, v[0:3], s[12:13]
	s_nop 1
	v_mov_b64_e32 v[0:1], s[8:9]
	v_mov_b64_e32 v[2:3], s[10:11]
	global_store_dwordx4 v10, v[0:3], s[12:13] offset:16
	global_store_dwordx4 v10, v[0:3], s[12:13] offset:32
	;; [unrolled: 1-line block ×3, first 2 shown]
	s_and_saveexec_b64 s[8:9], s[0:1]
	s_cbranch_execz .LBB9_103
; %bb.96:
	v_mov_b32_e32 v6, 0
	global_load_dwordx2 v[12:13], v6, s[4:5] offset:32 sc0 sc1
	global_load_dwordx2 v[0:1], v6, s[4:5] offset:40
	v_mov_b32_e32 v10, s6
	v_mov_b32_e32 v11, s7
	s_waitcnt vmcnt(0)
	v_and_b32_e32 v0, s6, v0
	v_and_b32_e32 v1, s7, v1
	v_mul_lo_u32 v1, v1, 24
	v_mul_hi_u32 v2, v0, 24
	v_mul_lo_u32 v0, v0, 24
	v_add_u32_e32 v1, v2, v1
	v_lshl_add_u64 v[4:5], v[4:5], 0, v[0:1]
	global_store_dwordx2 v[4:5], v[12:13], off
	buffer_wbl2 sc0 sc1
	s_waitcnt vmcnt(0)
	global_atomic_cmpswap_x2 v[2:3], v6, v[10:13], s[4:5] offset:32 sc0 sc1
	s_waitcnt vmcnt(0)
	v_cmp_ne_u64_e32 vcc, v[2:3], v[12:13]
	s_and_saveexec_b64 s[10:11], vcc
	s_cbranch_execz .LBB9_99
; %bb.97:
	s_mov_b64 s[12:13], 0
.LBB9_98:                               ; =>This Inner Loop Header: Depth=1
	s_sleep 1
	global_store_dwordx2 v[4:5], v[2:3], off
	v_mov_b32_e32 v0, s6
	v_mov_b32_e32 v1, s7
	buffer_wbl2 sc0 sc1
	s_waitcnt vmcnt(0)
	global_atomic_cmpswap_x2 v[0:1], v6, v[0:3], s[4:5] offset:32 sc0 sc1
	s_waitcnt vmcnt(0)
	v_cmp_eq_u64_e32 vcc, v[0:1], v[2:3]
	s_or_b64 s[12:13], vcc, s[12:13]
	v_mov_b64_e32 v[2:3], v[0:1]
	s_andn2_b64 exec, exec, s[12:13]
	s_cbranch_execnz .LBB9_98
.LBB9_99:
	s_or_b64 exec, exec, s[10:11]
	v_mov_b32_e32 v3, 0
	global_load_dwordx2 v[0:1], v3, s[4:5] offset:16
	s_mov_b64 s[10:11], exec
	v_mbcnt_lo_u32_b32 v2, s10, 0
	v_mbcnt_hi_u32_b32 v2, s11, v2
	v_cmp_eq_u32_e32 vcc, 0, v2
	s_and_saveexec_b64 s[12:13], vcc
	s_cbranch_execz .LBB9_101
; %bb.100:
	s_bcnt1_i32_b64 s10, s[10:11]
	v_mov_b32_e32 v2, s10
	buffer_wbl2 sc0 sc1
	s_waitcnt vmcnt(0)
	global_atomic_add_x2 v[0:1], v[2:3], off offset:8 sc1
.LBB9_101:
	s_or_b64 exec, exec, s[12:13]
	s_waitcnt vmcnt(0)
	global_load_dwordx2 v[2:3], v[0:1], off offset:16
	s_waitcnt vmcnt(0)
	v_cmp_eq_u64_e32 vcc, 0, v[2:3]
	s_cbranch_vccnz .LBB9_103
; %bb.102:
	global_load_dword v0, v[0:1], off offset:24
	v_mov_b32_e32 v1, 0
	s_waitcnt vmcnt(0)
	v_readfirstlane_b32 s10, v0
	s_and_b32 m0, s10, 0xffffff
	buffer_wbl2 sc0 sc1
	global_store_dwordx2 v[2:3], v[0:1], off sc0 sc1
	s_sendmsg sendmsg(MSG_INTERRUPT)
.LBB9_103:
	s_or_b64 exec, exec, s[8:9]
	s_branch .LBB9_107
.LBB9_104:                              ;   in Loop: Header=BB9_107 Depth=1
	s_or_b64 exec, exec, s[8:9]
	v_readfirstlane_b32 s8, v0
	s_cmp_eq_u32 s8, 0
	s_cbranch_scc1 .LBB9_106
; %bb.105:                              ;   in Loop: Header=BB9_107 Depth=1
	s_sleep 1
	s_cbranch_execnz .LBB9_107
	s_branch .LBB9_110
.LBB9_106:
	s_branch .LBB9_110
.LBB9_107:                              ; =>This Inner Loop Header: Depth=1
	v_mov_b32_e32 v0, 1
	s_and_saveexec_b64 s[8:9], s[0:1]
	s_cbranch_execz .LBB9_104
; %bb.108:                              ;   in Loop: Header=BB9_107 Depth=1
	global_load_dword v0, v[8:9], off offset:20 sc0 sc1
	s_waitcnt vmcnt(0)
	buffer_inv sc0 sc1
	v_and_b32_e32 v0, 1, v0
	s_branch .LBB9_104
.LBB9_109:
	s_or_b64 exec, exec, s[2:3]
	s_waitcnt vmcnt(0) lgkmcnt(0)
	s_setpc_b64 s[30:31]
.LBB9_110:
	s_and_saveexec_b64 s[8:9], s[0:1]
	s_cbranch_execz .LBB9_113
; %bb.111:
	v_mov_b32_e32 v6, 0
	global_load_dwordx2 v[0:1], v6, s[4:5] offset:40
	global_load_dwordx2 v[10:11], v6, s[4:5] offset:24 sc0 sc1
	global_load_dwordx2 v[2:3], v6, s[4:5]
	s_waitcnt vmcnt(2)
	v_readfirstlane_b32 s10, v0
	v_readfirstlane_b32 s11, v1
	s_add_u32 s12, s10, 1
	s_addc_u32 s13, s11, 0
	s_add_u32 s0, s12, s6
	s_addc_u32 s1, s13, s7
	s_cmp_eq_u64 s[0:1], 0
	s_cselect_b32 s1, s13, s1
	s_cselect_b32 s0, s12, s0
	s_and_b64 s[6:7], s[0:1], s[10:11]
	s_mul_i32 s7, s7, 24
	s_mul_hi_u32 s10, s6, 24
	s_mul_i32 s6, s6, 24
	s_add_i32 s7, s10, s7
	s_waitcnt vmcnt(0)
	v_lshl_add_u64 v[4:5], v[2:3], 0, s[6:7]
	v_mov_b32_e32 v8, s0
	global_store_dwordx2 v[4:5], v[10:11], off
	v_mov_b32_e32 v9, s1
	buffer_wbl2 sc0 sc1
	s_waitcnt vmcnt(0)
	global_atomic_cmpswap_x2 v[2:3], v6, v[8:11], s[4:5] offset:24 sc0 sc1
	s_mov_b64 s[6:7], 0
	s_waitcnt vmcnt(0)
	v_cmp_ne_u64_e32 vcc, v[2:3], v[10:11]
	s_and_b64 exec, exec, vcc
	s_cbranch_execz .LBB9_113
.LBB9_112:                              ; =>This Inner Loop Header: Depth=1
	s_sleep 1
	global_store_dwordx2 v[4:5], v[2:3], off
	v_mov_b32_e32 v0, s0
	v_mov_b32_e32 v1, s1
	buffer_wbl2 sc0 sc1
	s_waitcnt vmcnt(0)
	global_atomic_cmpswap_x2 v[0:1], v6, v[0:3], s[4:5] offset:24 sc0 sc1
	s_waitcnt vmcnt(0)
	v_cmp_eq_u64_e32 vcc, v[0:1], v[2:3]
	s_or_b64 s[6:7], vcc, s[6:7]
	v_mov_b64_e32 v[2:3], v[0:1]
	s_andn2_b64 exec, exec, s[6:7]
	s_cbranch_execnz .LBB9_112
.LBB9_113:
	s_or_b64 exec, exec, s[8:9]
	s_or_b64 exec, exec, s[2:3]
	s_waitcnt vmcnt(0) lgkmcnt(0)
	s_setpc_b64 s[30:31]
.Lfunc_end9:
	.size	__ockl_fprintf_append_string_n, .Lfunc_end9-__ockl_fprintf_append_string_n
                                        ; -- End function
	.set .L__ockl_fprintf_append_string_n.num_vgpr, 38
	.set .L__ockl_fprintf_append_string_n.num_agpr, 0
	.set .L__ockl_fprintf_append_string_n.numbered_sgpr, 32
	.set .L__ockl_fprintf_append_string_n.num_named_barrier, 0
	.set .L__ockl_fprintf_append_string_n.private_seg_size, 0
	.set .L__ockl_fprintf_append_string_n.uses_vcc, 1
	.set .L__ockl_fprintf_append_string_n.uses_flat_scratch, 0
	.set .L__ockl_fprintf_append_string_n.has_dyn_sized_stack, 0
	.set .L__ockl_fprintf_append_string_n.has_recursion, 0
	.set .L__ockl_fprintf_append_string_n.has_indirect_call, 0
	.section	.AMDGPU.csdata,"",@progbits
; Function info:
; codeLenInByte = 3764
; TotalNumSgprs: 38
; NumVgprs: 38
; NumAgprs: 0
; TotalNumVgprs: 38
; ScratchSize: 0
; MemoryBound: 0
	.text
	.p2align	2                               ; -- Begin function __assert_fail
	.type	__assert_fail,@function
__assert_fail:                          ; @__assert_fail
; %bb.0:
	s_waitcnt vmcnt(0) expcnt(0) lgkmcnt(0)
	s_mov_b32 s20, s33
	s_mov_b32 s33, s32
	s_or_saveexec_b64 s[0:1], -1
	scratch_store_dword off, v40, s33 offset:48 ; 4-byte Folded Spill
	s_mov_b64 exec, s[0:1]
	v_writelane_b32 v40, s30, 0
	s_add_i32 s32, s32, 64
	s_nop 0
	v_writelane_b32 v40, s31, 1
	v_mov_b32_e32 v32, v5
	v_mov_b32_e32 v5, 0
	s_getpc_b64 s[0:1]
	s_add_u32 s0, s0, __const.__assert_fail.fmt@rel32@lo+35
	s_addc_u32 s1, s1, __const.__assert_fail.fmt@rel32@hi+43
	global_load_dwordx4 v[8:11], v5, s[0:1]
	s_getpc_b64 s[0:1]
	s_add_u32 s0, s0, __const.__assert_fail.fmt@rel32@lo+4
	s_addc_u32 s1, s1, __const.__assert_fail.fmt@rel32@hi+12
	s_getpc_b64 s[10:11]
	s_add_u32 s10, s10, __const.__assert_fail.fmt@rel32@lo+20
	s_addc_u32 s11, s11, __const.__assert_fail.fmt@rel32@hi+28
	s_load_dwordx4 s[4:7], s[0:1], 0x0
	s_load_dwordx4 s[12:15], s[10:11], 0x0
	s_load_dwordx2 s[2:3], s[8:9], 0x50
	v_mov_b32_e32 v33, v6
	v_mov_b32_e32 v6, v0
	v_mbcnt_lo_u32_b32 v0, -1, 0
	v_mbcnt_hi_u32_b32 v48, -1, v0
	s_waitcnt lgkmcnt(0)
	v_mov_b64_e32 v[14:15], s[6:7]
	v_readfirstlane_b32 s0, v48
	v_mov_b32_e32 v7, v1
	v_mov_b64_e32 v[12:13], s[4:5]
	v_cmp_eq_u32_e64 s[0:1], s0, v48
	v_mov_b64_e32 v[18:19], s[14:15]
	v_mov_b64_e32 v[0:1], 0
	;; [unrolled: 1-line block ×3, first 2 shown]
	scratch_store_dwordx4 off, v[12:15], s33
	scratch_store_dwordx4 off, v[16:19], s33 offset:16
	s_waitcnt vmcnt(2)
	scratch_store_dwordx4 off, v[8:11], s33 offset:31
	s_and_saveexec_b64 s[4:5], s[0:1]
	s_cbranch_execz .LBB10_6
; %bb.1:
	global_load_dwordx2 v[10:11], v5, s[2:3] offset:24 sc0 sc1
	s_waitcnt vmcnt(0)
	buffer_inv sc0 sc1
	global_load_dwordx2 v[0:1], v5, s[2:3] offset:40
	global_load_dwordx2 v[8:9], v5, s[2:3]
	s_waitcnt vmcnt(1)
	v_and_b32_e32 v0, v0, v10
	v_and_b32_e32 v1, v1, v11
	v_mul_lo_u32 v1, v1, 24
	v_mul_hi_u32 v12, v0, 24
	v_add_u32_e32 v1, v12, v1
	v_mul_lo_u32 v0, v0, 24
	s_waitcnt vmcnt(0)
	v_lshl_add_u64 v[0:1], v[8:9], 0, v[0:1]
	global_load_dwordx2 v[8:9], v[0:1], off sc0 sc1
	s_waitcnt vmcnt(0)
	global_atomic_cmpswap_x2 v[0:1], v5, v[8:11], s[2:3] offset:24 sc0 sc1
	s_waitcnt vmcnt(0)
	buffer_inv sc0 sc1
	v_cmp_ne_u64_e32 vcc, v[0:1], v[10:11]
	s_and_saveexec_b64 s[6:7], vcc
	s_cbranch_execz .LBB10_5
; %bb.2:
	s_mov_b64 s[10:11], 0
	v_mov_b32_e32 v8, 0
.LBB10_3:                               ; =>This Inner Loop Header: Depth=1
	s_sleep 1
	global_load_dwordx2 v[10:11], v8, s[2:3] offset:40
	global_load_dwordx2 v[14:15], v8, s[2:3]
	v_mov_b64_e32 v[12:13], v[0:1]
	s_waitcnt vmcnt(1)
	v_and_b32_e32 v0, v10, v12
	s_waitcnt vmcnt(0)
	v_mad_u64_u32 v[0:1], s[12:13], v0, 24, v[14:15]
	v_and_b32_e32 v9, v11, v13
	v_mov_b32_e32 v10, v1
	v_mad_u64_u32 v[10:11], s[12:13], v9, 24, v[10:11]
	v_mov_b32_e32 v1, v10
	global_load_dwordx2 v[10:11], v[0:1], off sc0 sc1
	s_waitcnt vmcnt(0)
	global_atomic_cmpswap_x2 v[0:1], v8, v[10:13], s[2:3] offset:24 sc0 sc1
	s_waitcnt vmcnt(0)
	buffer_inv sc0 sc1
	v_cmp_eq_u64_e32 vcc, v[0:1], v[12:13]
	s_or_b64 s[10:11], vcc, s[10:11]
	s_andn2_b64 exec, exec, s[10:11]
	s_cbranch_execnz .LBB10_3
; %bb.4:
	s_or_b64 exec, exec, s[10:11]
.LBB10_5:
	s_or_b64 exec, exec, s[6:7]
.LBB10_6:
	s_or_b64 exec, exec, s[4:5]
	global_load_dwordx2 v[12:13], v5, s[2:3] offset:40
	global_load_dwordx4 v[8:11], v5, s[2:3]
	v_readfirstlane_b32 s5, v1
	v_readfirstlane_b32 s4, v0
	s_mov_b64 s[6:7], exec
	s_waitcnt vmcnt(1)
	v_readfirstlane_b32 s10, v12
	v_readfirstlane_b32 s11, v13
	s_and_b64 s[10:11], s[10:11], s[4:5]
	s_mul_i32 s12, s11, 24
	s_mul_hi_u32 s13, s10, 24
	s_add_i32 s13, s13, s12
	s_mul_i32 s12, s10, 24
	s_waitcnt vmcnt(0)
	v_lshl_add_u64 v[0:1], v[8:9], 0, s[12:13]
	s_and_saveexec_b64 s[12:13], s[0:1]
	s_cbranch_execz .LBB10_8
; %bb.7:
	v_mov_b64_e32 v[12:13], s[6:7]
	v_mov_b32_e32 v14, 2
	v_mov_b32_e32 v15, 1
	global_store_dwordx4 v[0:1], v[12:15], off offset:8
.LBB10_8:
	s_or_b64 exec, exec, s[12:13]
	s_lshl_b64 s[6:7], s[10:11], 12
	v_lshl_add_u64 v[12:13], v[10:11], 0, s[6:7]
	v_mov_b32_e32 v31, 0
	s_mov_b32 s12, 0
	v_lshlrev_b32_e32 v30, 6, v48
	v_mov_b32_e32 v14, 33
	v_mov_b32_e32 v16, 1
	;; [unrolled: 1-line block ×4, first 2 shown]
	v_readfirstlane_b32 s6, v12
	v_readfirstlane_b32 s7, v13
	s_mov_b32 s14, s12
	s_mov_b32 s15, s12
	;; [unrolled: 1-line block ×3, first 2 shown]
	s_nop 1
	global_store_dwordx4 v30, v[14:17], s[6:7]
	s_nop 1
	v_mov_b64_e32 v[16:17], s[14:15]
	v_mov_b64_e32 v[14:15], s[12:13]
	global_store_dwordx4 v30, v[14:17], s[6:7] offset:16
	global_store_dwordx4 v30, v[14:17], s[6:7] offset:32
	;; [unrolled: 1-line block ×3, first 2 shown]
	s_and_saveexec_b64 s[6:7], s[0:1]
	s_cbranch_execz .LBB10_16
; %bb.9:
	global_load_dwordx2 v[18:19], v31, s[2:3] offset:32 sc0 sc1
	global_load_dwordx2 v[10:11], v31, s[2:3] offset:40
	v_mov_b32_e32 v16, s4
	v_mov_b32_e32 v17, s5
	s_waitcnt vmcnt(0)
	v_and_b32_e32 v5, s4, v10
	v_and_b32_e32 v10, s5, v11
	v_mul_lo_u32 v11, v10, 24
	v_mul_hi_u32 v14, v5, 24
	v_mul_lo_u32 v10, v5, 24
	v_add_u32_e32 v11, v14, v11
	v_lshl_add_u64 v[14:15], v[8:9], 0, v[10:11]
	global_store_dwordx2 v[14:15], v[18:19], off
	buffer_wbl2 sc0 sc1
	s_waitcnt vmcnt(0)
	global_atomic_cmpswap_x2 v[10:11], v31, v[16:19], s[2:3] offset:32 sc0 sc1
	s_waitcnt vmcnt(0)
	v_cmp_ne_u64_e32 vcc, v[10:11], v[18:19]
	s_and_saveexec_b64 s[10:11], vcc
	s_cbranch_execz .LBB10_12
; %bb.10:
	s_mov_b64 s[12:13], 0
	v_mov_b32_e32 v5, 0
.LBB10_11:                              ; =>This Inner Loop Header: Depth=1
	s_sleep 1
	global_store_dwordx2 v[14:15], v[10:11], off
	v_mov_b32_e32 v8, s4
	v_mov_b32_e32 v9, s5
	buffer_wbl2 sc0 sc1
	s_waitcnt vmcnt(0)
	global_atomic_cmpswap_x2 v[8:9], v5, v[8:11], s[2:3] offset:32 sc0 sc1
	s_waitcnt vmcnt(0)
	v_cmp_eq_u64_e32 vcc, v[8:9], v[10:11]
	s_or_b64 s[12:13], vcc, s[12:13]
	v_mov_b64_e32 v[10:11], v[8:9]
	s_andn2_b64 exec, exec, s[12:13]
	s_cbranch_execnz .LBB10_11
.LBB10_12:
	s_or_b64 exec, exec, s[10:11]
	v_mov_b32_e32 v11, 0
	global_load_dwordx2 v[8:9], v11, s[2:3] offset:16
	s_mov_b64 s[10:11], exec
	v_mbcnt_lo_u32_b32 v5, s10, 0
	v_mbcnt_hi_u32_b32 v5, s11, v5
	v_cmp_eq_u32_e32 vcc, 0, v5
	s_and_saveexec_b64 s[12:13], vcc
	s_cbranch_execz .LBB10_14
; %bb.13:
	s_bcnt1_i32_b64 s10, s[10:11]
	v_mov_b32_e32 v10, s10
	buffer_wbl2 sc0 sc1
	s_waitcnt vmcnt(0)
	global_atomic_add_x2 v[8:9], v[10:11], off offset:8 sc1
.LBB10_14:
	s_or_b64 exec, exec, s[12:13]
	s_waitcnt vmcnt(0)
	global_load_dwordx2 v[10:11], v[8:9], off offset:16
	s_waitcnt vmcnt(0)
	v_cmp_eq_u64_e32 vcc, 0, v[10:11]
	s_cbranch_vccnz .LBB10_16
; %bb.15:
	global_load_dword v8, v[8:9], off offset:24
	v_mov_b32_e32 v9, 0
	s_waitcnt vmcnt(0)
	v_readfirstlane_b32 s10, v8
	s_and_b32 m0, s10, 0xffffff
	buffer_wbl2 sc0 sc1
	global_store_dwordx2 v[10:11], v[8:9], off sc0 sc1
	s_sendmsg sendmsg(MSG_INTERRUPT)
.LBB10_16:
	s_or_b64 exec, exec, s[6:7]
	v_lshl_add_u64 v[8:9], v[12:13], 0, v[30:31]
	s_branch .LBB10_20
.LBB10_17:                              ;   in Loop: Header=BB10_20 Depth=1
	s_or_b64 exec, exec, s[6:7]
	v_readfirstlane_b32 s6, v5
	s_cmp_eq_u32 s6, 0
	s_cbranch_scc1 .LBB10_19
; %bb.18:                               ;   in Loop: Header=BB10_20 Depth=1
	s_sleep 1
	s_cbranch_execnz .LBB10_20
	s_branch .LBB10_22
.LBB10_19:
	s_branch .LBB10_22
.LBB10_20:                              ; =>This Inner Loop Header: Depth=1
	v_mov_b32_e32 v5, 1
	s_and_saveexec_b64 s[6:7], s[0:1]
	s_cbranch_execz .LBB10_17
; %bb.21:                               ;   in Loop: Header=BB10_20 Depth=1
	global_load_dword v5, v[0:1], off offset:20 sc0 sc1
	s_waitcnt vmcnt(0)
	buffer_inv sc0 sc1
	v_and_b32_e32 v5, 1, v5
	s_branch .LBB10_17
.LBB10_22:
	global_load_dwordx2 v[12:13], v[8:9], off
	s_and_saveexec_b64 s[6:7], s[0:1]
	s_cbranch_execz .LBB10_25
; %bb.23:
	v_mov_b32_e32 v5, 0
	global_load_dwordx2 v[0:1], v5, s[2:3] offset:40
	global_load_dwordx2 v[16:17], v5, s[2:3] offset:24 sc0 sc1
	global_load_dwordx2 v[8:9], v5, s[2:3]
	s_waitcnt vmcnt(2)
	v_readfirstlane_b32 s10, v0
	v_readfirstlane_b32 s11, v1
	s_add_u32 s12, s10, 1
	s_addc_u32 s13, s11, 0
	s_add_u32 s0, s12, s4
	s_addc_u32 s1, s13, s5
	s_cmp_eq_u64 s[0:1], 0
	s_cselect_b32 s1, s13, s1
	s_cselect_b32 s0, s12, s0
	s_and_b64 s[4:5], s[0:1], s[10:11]
	s_mul_i32 s5, s5, 24
	s_mul_hi_u32 s10, s4, 24
	s_mul_i32 s4, s4, 24
	s_add_i32 s5, s10, s5
	s_waitcnt vmcnt(0)
	v_lshl_add_u64 v[0:1], v[8:9], 0, s[4:5]
	v_mov_b32_e32 v14, s0
	global_store_dwordx2 v[0:1], v[16:17], off
	v_mov_b32_e32 v15, s1
	buffer_wbl2 sc0 sc1
	s_waitcnt vmcnt(0)
	global_atomic_cmpswap_x2 v[10:11], v5, v[14:17], s[2:3] offset:24 sc0 sc1
	s_mov_b64 s[4:5], 0
	s_waitcnt vmcnt(0)
	v_cmp_ne_u64_e32 vcc, v[10:11], v[16:17]
	s_and_b64 exec, exec, vcc
	s_cbranch_execz .LBB10_25
.LBB10_24:                              ; =>This Inner Loop Header: Depth=1
	s_sleep 1
	global_store_dwordx2 v[0:1], v[10:11], off
	v_mov_b32_e32 v8, s0
	v_mov_b32_e32 v9, s1
	buffer_wbl2 sc0 sc1
	s_waitcnt vmcnt(0)
	global_atomic_cmpswap_x2 v[8:9], v5, v[8:11], s[2:3] offset:24 sc0 sc1
	s_waitcnt vmcnt(0)
	v_cmp_eq_u64_e32 vcc, v[8:9], v[10:11]
	s_or_b64 s[4:5], vcc, s[4:5]
	v_mov_b64_e32 v[10:11], v[8:9]
	s_andn2_b64 exec, exec, s[4:5]
	s_cbranch_execnz .LBB10_24
.LBB10_25:
	s_or_b64 exec, exec, s[6:7]
	s_mov_b32 s4, s33
	s_mov_b64 s[0:1], 0
.LBB10_26:                              ; =>This Inner Loop Header: Depth=1
	scratch_load_ubyte v1, off, s4
	s_add_i32 s4, s4, 1
	v_mov_b32_e32 v0, s4
	s_waitcnt vmcnt(0)
	v_cmp_eq_u16_e32 vcc, 0, v1
	s_or_b64 s[0:1], vcc, s[0:1]
	s_andn2_b64 exec, exec, s[0:1]
	s_cbranch_execnz .LBB10_26
; %bb.27:
	s_or_b64 exec, exec, s[0:1]
	s_cmp_lg_u32 s33, -1
	s_cbranch_scc0 .LBB10_112
; %bb.28:
	v_subrev_u32_e32 v0, s33, v0
	v_ashrrev_i32_e32 v1, 31, v0
	v_and_b32_e32 v34, 2, v12
	v_mov_b32_e32 v31, 0
	v_and_b32_e32 v8, -3, v12
	v_mov_b32_e32 v9, v13
	s_mov_b64 s[4:5], 0
	v_mov_b32_e32 v5, s33
	s_mov_b32 s16, 0
	s_movk_i32 s17, 0x1e0
	v_mov_b32_e32 v52, 2
	v_mov_b32_e32 v53, 1
	s_branch .LBB10_30
.LBB10_29:                              ;   in Loop: Header=BB10_30 Depth=1
	s_or_b64 exec, exec, s[10:11]
	v_sub_co_u32_e32 v0, vcc, v0, v36
	v_add_u32_e32 v5, v5, v36
	s_nop 0
	v_subb_co_u32_e32 v1, vcc, v1, v37, vcc
	v_cmp_eq_u64_e32 vcc, 0, v[0:1]
	s_or_b64 s[4:5], vcc, s[4:5]
	s_andn2_b64 exec, exec, s[4:5]
	s_cbranch_execz .LBB10_113
.LBB10_30:                              ; =>This Loop Header: Depth=1
                                        ;     Child Loop BB10_33 Depth 2
                                        ;     Child Loop BB10_41 Depth 2
	;; [unrolled: 1-line block ×11, first 2 shown]
	v_cmp_gt_u64_e32 vcc, 56, v[0:1]
	v_add_u32_e32 v16, 8, v5
	s_nop 0
	v_cndmask_b32_e32 v37, 0, v1, vcc
	v_cndmask_b32_e32 v36, 56, v0, vcc
	v_cmp_gt_u64_e32 vcc, 8, v[0:1]
	s_and_saveexec_b64 s[0:1], vcc
	s_xor_b64 s[0:1], exec, s[0:1]
	s_cbranch_execz .LBB10_36
; %bb.31:                               ;   in Loop: Header=BB10_30 Depth=1
	v_mov_b64_e32 v[10:11], 0
	v_cmp_ne_u64_e32 vcc, 0, v[0:1]
	s_and_saveexec_b64 s[6:7], vcc
	s_cbranch_execz .LBB10_35
; %bb.32:                               ;   in Loop: Header=BB10_30 Depth=1
	v_lshlrev_b64 v[14:15], 3, v[36:37]
	s_mov_b64 s[10:11], 0
	v_mov_b64_e32 v[10:11], 0
	s_mov_b64 s[12:13], 0
	v_mov_b32_e32 v15, v5
.LBB10_33:                              ;   Parent Loop BB10_30 Depth=1
                                        ; =>  This Inner Loop Header: Depth=2
	scratch_load_ubyte v16, v15, off
	v_mov_b32_e32 v17, s16
	v_add_u32_e32 v15, 1, v15
	s_waitcnt vmcnt(0)
	v_and_b32_e32 v16, 0xffff, v16
	v_lshlrev_b64 v[16:17], s12, v[16:17]
	s_add_u32 s12, s12, 8
	s_addc_u32 s13, s13, 0
	v_cmp_eq_u32_e32 vcc, s12, v14
	v_or_b32_e32 v11, v17, v11
	s_or_b64 s[10:11], vcc, s[10:11]
	v_or_b32_e32 v10, v16, v10
	s_andn2_b64 exec, exec, s[10:11]
	s_cbranch_execnz .LBB10_33
; %bb.34:                               ;   in Loop: Header=BB10_30 Depth=1
	s_or_b64 exec, exec, s[10:11]
.LBB10_35:                              ;   in Loop: Header=BB10_30 Depth=1
	s_or_b64 exec, exec, s[6:7]
	v_mov_b32_e32 v16, v5
.LBB10_36:                              ;   in Loop: Header=BB10_30 Depth=1
	s_or_saveexec_b64 s[0:1], s[0:1]
	v_mov_b32_e32 v17, 0
	s_xor_b64 exec, exec, s[0:1]
	s_cbranch_execz .LBB10_38
; %bb.37:                               ;   in Loop: Header=BB10_30 Depth=1
	scratch_load_dwordx2 v[10:11], v5, off
	v_add_u32_e32 v17, -8, v36
.LBB10_38:                              ;   in Loop: Header=BB10_30 Depth=1
	s_or_b64 exec, exec, s[0:1]
	v_cmp_gt_u32_e32 vcc, 8, v17
	v_add_u32_e32 v18, 8, v16
                                        ; implicit-def: $vgpr14_vgpr15
	s_and_saveexec_b64 s[0:1], vcc
	s_xor_b64 s[0:1], exec, s[0:1]
	s_cbranch_execz .LBB10_44
; %bb.39:                               ;   in Loop: Header=BB10_30 Depth=1
	v_cmp_ne_u32_e32 vcc, 0, v17
	v_mov_b64_e32 v[14:15], 0
	s_and_saveexec_b64 s[6:7], vcc
	s_cbranch_execz .LBB10_43
; %bb.40:                               ;   in Loop: Header=BB10_30 Depth=1
	s_mov_b32 s14, 0
	s_mov_b64 s[10:11], 0
	v_mov_b64_e32 v[14:15], 0
	s_mov_b64 s[12:13], 0
.LBB10_41:                              ;   Parent Loop BB10_30 Depth=1
                                        ; =>  This Inner Loop Header: Depth=2
	v_add_u32_e32 v18, s14, v16
	scratch_load_ubyte v18, v18, off
	v_mov_b32_e32 v19, s16
	s_add_i32 s14, s14, 1
	v_cmp_eq_u32_e32 vcc, s14, v17
	s_waitcnt vmcnt(0)
	v_and_b32_e32 v18, 0xffff, v18
	v_lshlrev_b64 v[18:19], s12, v[18:19]
	s_add_u32 s12, s12, 8
	s_addc_u32 s13, s13, 0
	v_or_b32_e32 v15, v19, v15
	s_or_b64 s[10:11], vcc, s[10:11]
	v_or_b32_e32 v14, v18, v14
	s_andn2_b64 exec, exec, s[10:11]
	s_cbranch_execnz .LBB10_41
; %bb.42:                               ;   in Loop: Header=BB10_30 Depth=1
	s_or_b64 exec, exec, s[10:11]
.LBB10_43:                              ;   in Loop: Header=BB10_30 Depth=1
	s_or_b64 exec, exec, s[6:7]
	v_mov_b32_e32 v18, v16
                                        ; implicit-def: $vgpr17
.LBB10_44:                              ;   in Loop: Header=BB10_30 Depth=1
	s_or_saveexec_b64 s[0:1], s[0:1]
	v_mov_b32_e32 v19, 0
	s_xor_b64 exec, exec, s[0:1]
	s_cbranch_execz .LBB10_46
; %bb.45:                               ;   in Loop: Header=BB10_30 Depth=1
	scratch_load_dwordx2 v[14:15], v16, off
	v_add_u32_e32 v19, -8, v17
.LBB10_46:                              ;   in Loop: Header=BB10_30 Depth=1
	s_or_b64 exec, exec, s[0:1]
	v_cmp_gt_u32_e32 vcc, 8, v19
	v_add_u32_e32 v20, 8, v18
	s_and_saveexec_b64 s[0:1], vcc
	s_xor_b64 s[0:1], exec, s[0:1]
	s_cbranch_execz .LBB10_52
; %bb.47:                               ;   in Loop: Header=BB10_30 Depth=1
	v_cmp_ne_u32_e32 vcc, 0, v19
	v_mov_b64_e32 v[16:17], 0
	s_and_saveexec_b64 s[6:7], vcc
	s_cbranch_execz .LBB10_51
; %bb.48:                               ;   in Loop: Header=BB10_30 Depth=1
	s_mov_b32 s14, 0
	s_mov_b64 s[10:11], 0
	v_mov_b64_e32 v[16:17], 0
	s_mov_b64 s[12:13], 0
.LBB10_49:                              ;   Parent Loop BB10_30 Depth=1
                                        ; =>  This Inner Loop Header: Depth=2
	v_add_u32_e32 v20, s14, v18
	scratch_load_ubyte v20, v20, off
	v_mov_b32_e32 v21, s16
	s_add_i32 s14, s14, 1
	v_cmp_eq_u32_e32 vcc, s14, v19
	s_waitcnt vmcnt(0)
	v_and_b32_e32 v20, 0xffff, v20
	v_lshlrev_b64 v[20:21], s12, v[20:21]
	s_add_u32 s12, s12, 8
	s_addc_u32 s13, s13, 0
	v_or_b32_e32 v17, v21, v17
	s_or_b64 s[10:11], vcc, s[10:11]
	v_or_b32_e32 v16, v20, v16
	s_andn2_b64 exec, exec, s[10:11]
	s_cbranch_execnz .LBB10_49
; %bb.50:                               ;   in Loop: Header=BB10_30 Depth=1
	s_or_b64 exec, exec, s[10:11]
.LBB10_51:                              ;   in Loop: Header=BB10_30 Depth=1
	s_or_b64 exec, exec, s[6:7]
	v_mov_b32_e32 v20, v18
                                        ; implicit-def: $vgpr19
.LBB10_52:                              ;   in Loop: Header=BB10_30 Depth=1
	s_or_saveexec_b64 s[0:1], s[0:1]
	v_mov_b32_e32 v21, 0
	s_xor_b64 exec, exec, s[0:1]
	s_cbranch_execz .LBB10_54
; %bb.53:                               ;   in Loop: Header=BB10_30 Depth=1
	scratch_load_dwordx2 v[16:17], v18, off
	v_add_u32_e32 v21, -8, v19
.LBB10_54:                              ;   in Loop: Header=BB10_30 Depth=1
	s_or_b64 exec, exec, s[0:1]
	v_cmp_gt_u32_e32 vcc, 8, v21
	v_add_u32_e32 v22, 8, v20
                                        ; implicit-def: $vgpr18_vgpr19
	s_and_saveexec_b64 s[0:1], vcc
	s_xor_b64 s[0:1], exec, s[0:1]
	s_cbranch_execz .LBB10_60
; %bb.55:                               ;   in Loop: Header=BB10_30 Depth=1
	v_cmp_ne_u32_e32 vcc, 0, v21
	v_mov_b64_e32 v[18:19], 0
	s_and_saveexec_b64 s[6:7], vcc
	s_cbranch_execz .LBB10_59
; %bb.56:                               ;   in Loop: Header=BB10_30 Depth=1
	s_mov_b32 s14, 0
	s_mov_b64 s[10:11], 0
	v_mov_b64_e32 v[18:19], 0
	s_mov_b64 s[12:13], 0
.LBB10_57:                              ;   Parent Loop BB10_30 Depth=1
                                        ; =>  This Inner Loop Header: Depth=2
	v_add_u32_e32 v22, s14, v20
	scratch_load_ubyte v22, v22, off
	v_mov_b32_e32 v23, s16
	s_add_i32 s14, s14, 1
	v_cmp_eq_u32_e32 vcc, s14, v21
	s_waitcnt vmcnt(0)
	v_and_b32_e32 v22, 0xffff, v22
	v_lshlrev_b64 v[22:23], s12, v[22:23]
	s_add_u32 s12, s12, 8
	s_addc_u32 s13, s13, 0
	v_or_b32_e32 v19, v23, v19
	s_or_b64 s[10:11], vcc, s[10:11]
	v_or_b32_e32 v18, v22, v18
	s_andn2_b64 exec, exec, s[10:11]
	s_cbranch_execnz .LBB10_57
; %bb.58:                               ;   in Loop: Header=BB10_30 Depth=1
	s_or_b64 exec, exec, s[10:11]
.LBB10_59:                              ;   in Loop: Header=BB10_30 Depth=1
	s_or_b64 exec, exec, s[6:7]
	v_mov_b32_e32 v22, v20
                                        ; implicit-def: $vgpr21
.LBB10_60:                              ;   in Loop: Header=BB10_30 Depth=1
	s_or_saveexec_b64 s[0:1], s[0:1]
	v_mov_b32_e32 v23, 0
	s_xor_b64 exec, exec, s[0:1]
	s_cbranch_execz .LBB10_62
; %bb.61:                               ;   in Loop: Header=BB10_30 Depth=1
	scratch_load_dwordx2 v[18:19], v20, off
	v_add_u32_e32 v23, -8, v21
.LBB10_62:                              ;   in Loop: Header=BB10_30 Depth=1
	s_or_b64 exec, exec, s[0:1]
	v_cmp_gt_u32_e32 vcc, 8, v23
	v_add_u32_e32 v24, 8, v22
	s_and_saveexec_b64 s[0:1], vcc
	s_xor_b64 s[0:1], exec, s[0:1]
	s_cbranch_execz .LBB10_68
; %bb.63:                               ;   in Loop: Header=BB10_30 Depth=1
	v_cmp_ne_u32_e32 vcc, 0, v23
	v_mov_b64_e32 v[20:21], 0
	s_and_saveexec_b64 s[6:7], vcc
	s_cbranch_execz .LBB10_67
; %bb.64:                               ;   in Loop: Header=BB10_30 Depth=1
	s_mov_b32 s14, 0
	s_mov_b64 s[10:11], 0
	v_mov_b64_e32 v[20:21], 0
	s_mov_b64 s[12:13], 0
.LBB10_65:                              ;   Parent Loop BB10_30 Depth=1
                                        ; =>  This Inner Loop Header: Depth=2
	v_add_u32_e32 v24, s14, v22
	scratch_load_ubyte v24, v24, off
	v_mov_b32_e32 v25, s16
	s_add_i32 s14, s14, 1
	v_cmp_eq_u32_e32 vcc, s14, v23
	s_waitcnt vmcnt(0)
	v_and_b32_e32 v24, 0xffff, v24
	v_lshlrev_b64 v[24:25], s12, v[24:25]
	s_add_u32 s12, s12, 8
	s_addc_u32 s13, s13, 0
	v_or_b32_e32 v21, v25, v21
	s_or_b64 s[10:11], vcc, s[10:11]
	v_or_b32_e32 v20, v24, v20
	s_andn2_b64 exec, exec, s[10:11]
	s_cbranch_execnz .LBB10_65
; %bb.66:                               ;   in Loop: Header=BB10_30 Depth=1
	s_or_b64 exec, exec, s[10:11]
.LBB10_67:                              ;   in Loop: Header=BB10_30 Depth=1
	s_or_b64 exec, exec, s[6:7]
	v_mov_b32_e32 v24, v22
                                        ; implicit-def: $vgpr23
.LBB10_68:                              ;   in Loop: Header=BB10_30 Depth=1
	s_or_saveexec_b64 s[0:1], s[0:1]
	v_mov_b32_e32 v25, 0
	s_xor_b64 exec, exec, s[0:1]
	s_cbranch_execz .LBB10_70
; %bb.69:                               ;   in Loop: Header=BB10_30 Depth=1
	scratch_load_dwordx2 v[20:21], v22, off
	v_add_u32_e32 v25, -8, v23
.LBB10_70:                              ;   in Loop: Header=BB10_30 Depth=1
	s_or_b64 exec, exec, s[0:1]
	v_cmp_gt_u32_e32 vcc, 8, v25
	v_add_u32_e32 v26, 8, v24
                                        ; implicit-def: $vgpr22_vgpr23
	s_and_saveexec_b64 s[0:1], vcc
	s_xor_b64 s[0:1], exec, s[0:1]
	s_cbranch_execz .LBB10_76
; %bb.71:                               ;   in Loop: Header=BB10_30 Depth=1
	v_cmp_ne_u32_e32 vcc, 0, v25
	v_mov_b64_e32 v[22:23], 0
	s_and_saveexec_b64 s[6:7], vcc
	s_cbranch_execz .LBB10_75
; %bb.72:                               ;   in Loop: Header=BB10_30 Depth=1
	s_mov_b32 s14, 0
	s_mov_b64 s[10:11], 0
	v_mov_b64_e32 v[22:23], 0
	s_mov_b64 s[12:13], 0
.LBB10_73:                              ;   Parent Loop BB10_30 Depth=1
                                        ; =>  This Inner Loop Header: Depth=2
	v_add_u32_e32 v26, s14, v24
	scratch_load_ubyte v26, v26, off
	v_mov_b32_e32 v27, s16
	s_add_i32 s14, s14, 1
	v_cmp_eq_u32_e32 vcc, s14, v25
	s_waitcnt vmcnt(0)
	v_and_b32_e32 v26, 0xffff, v26
	v_lshlrev_b64 v[26:27], s12, v[26:27]
	s_add_u32 s12, s12, 8
	s_addc_u32 s13, s13, 0
	v_or_b32_e32 v23, v27, v23
	s_or_b64 s[10:11], vcc, s[10:11]
	v_or_b32_e32 v22, v26, v22
	s_andn2_b64 exec, exec, s[10:11]
	s_cbranch_execnz .LBB10_73
; %bb.74:                               ;   in Loop: Header=BB10_30 Depth=1
	s_or_b64 exec, exec, s[10:11]
.LBB10_75:                              ;   in Loop: Header=BB10_30 Depth=1
	s_or_b64 exec, exec, s[6:7]
	v_mov_b32_e32 v26, v24
                                        ; implicit-def: $vgpr25
.LBB10_76:                              ;   in Loop: Header=BB10_30 Depth=1
	s_or_saveexec_b64 s[0:1], s[0:1]
	v_mov_b32_e32 v27, 0
	s_xor_b64 exec, exec, s[0:1]
	s_cbranch_execz .LBB10_78
; %bb.77:                               ;   in Loop: Header=BB10_30 Depth=1
	scratch_load_dwordx2 v[22:23], v24, off
	v_add_u32_e32 v27, -8, v25
.LBB10_78:                              ;   in Loop: Header=BB10_30 Depth=1
	s_or_b64 exec, exec, s[0:1]
	v_cmp_gt_u32_e32 vcc, 8, v27
	s_and_saveexec_b64 s[0:1], vcc
	s_xor_b64 s[0:1], exec, s[0:1]
	s_cbranch_execz .LBB10_84
; %bb.79:                               ;   in Loop: Header=BB10_30 Depth=1
	v_cmp_ne_u32_e32 vcc, 0, v27
	v_mov_b64_e32 v[24:25], 0
	s_and_saveexec_b64 s[6:7], vcc
	s_cbranch_execz .LBB10_83
; %bb.80:                               ;   in Loop: Header=BB10_30 Depth=1
	s_mov_b64 s[10:11], 0
	v_mov_b64_e32 v[24:25], 0
	s_mov_b64 s[12:13], 0
.LBB10_81:                              ;   Parent Loop BB10_30 Depth=1
                                        ; =>  This Inner Loop Header: Depth=2
	scratch_load_ubyte v28, v26, off
	v_mov_b32_e32 v29, s16
	v_add_u32_e32 v27, -1, v27
	v_cmp_eq_u32_e32 vcc, 0, v27
	v_add_u32_e32 v26, 1, v26
	s_waitcnt vmcnt(0)
	v_and_b32_e32 v28, 0xffff, v28
	v_lshlrev_b64 v[28:29], s12, v[28:29]
	s_add_u32 s12, s12, 8
	s_addc_u32 s13, s13, 0
	v_or_b32_e32 v25, v29, v25
	s_or_b64 s[10:11], vcc, s[10:11]
	v_or_b32_e32 v24, v28, v24
	s_andn2_b64 exec, exec, s[10:11]
	s_cbranch_execnz .LBB10_81
; %bb.82:                               ;   in Loop: Header=BB10_30 Depth=1
	s_or_b64 exec, exec, s[10:11]
.LBB10_83:                              ;   in Loop: Header=BB10_30 Depth=1
	s_or_b64 exec, exec, s[6:7]
                                        ; implicit-def: $vgpr26
.LBB10_84:                              ;   in Loop: Header=BB10_30 Depth=1
	s_andn2_saveexec_b64 s[0:1], s[0:1]
	s_cbranch_execz .LBB10_86
; %bb.85:                               ;   in Loop: Header=BB10_30 Depth=1
	scratch_load_dwordx2 v[24:25], v26, off
.LBB10_86:                              ;   in Loop: Header=BB10_30 Depth=1
	s_or_b64 exec, exec, s[0:1]
	v_readfirstlane_b32 s0, v48
	v_mov_b64_e32 v[38:39], 0
	s_nop 0
	v_cmp_eq_u32_e64 s[0:1], s0, v48
	s_and_saveexec_b64 s[6:7], s[0:1]
	s_cbranch_execz .LBB10_92
; %bb.87:                               ;   in Loop: Header=BB10_30 Depth=1
	global_load_dwordx2 v[28:29], v31, s[2:3] offset:24 sc0 sc1
	s_waitcnt vmcnt(0)
	buffer_inv sc0 sc1
	global_load_dwordx2 v[26:27], v31, s[2:3] offset:40
	global_load_dwordx2 v[38:39], v31, s[2:3]
	s_waitcnt vmcnt(1)
	v_and_b32_e32 v26, v26, v28
	v_and_b32_e32 v27, v27, v29
	v_mul_lo_u32 v27, v27, 24
	v_mul_hi_u32 v35, v26, 24
	v_add_u32_e32 v27, v35, v27
	v_mul_lo_u32 v26, v26, 24
	s_waitcnt vmcnt(0)
	v_lshl_add_u64 v[26:27], v[38:39], 0, v[26:27]
	global_load_dwordx2 v[26:27], v[26:27], off sc0 sc1
	s_waitcnt vmcnt(0)
	global_atomic_cmpswap_x2 v[38:39], v31, v[26:29], s[2:3] offset:24 sc0 sc1
	s_waitcnt vmcnt(0)
	buffer_inv sc0 sc1
	v_cmp_ne_u64_e32 vcc, v[38:39], v[28:29]
	s_and_saveexec_b64 s[10:11], vcc
	s_cbranch_execz .LBB10_91
; %bb.88:                               ;   in Loop: Header=BB10_30 Depth=1
	s_mov_b64 s[12:13], 0
.LBB10_89:                              ;   Parent Loop BB10_30 Depth=1
                                        ; =>  This Inner Loop Header: Depth=2
	s_sleep 1
	global_load_dwordx2 v[26:27], v31, s[2:3] offset:40
	global_load_dwordx2 v[50:51], v31, s[2:3]
	v_mov_b64_e32 v[28:29], v[38:39]
	s_waitcnt vmcnt(1)
	v_and_b32_e32 v26, v26, v28
	v_and_b32_e32 v35, v27, v29
	s_waitcnt vmcnt(0)
	v_mad_u64_u32 v[26:27], s[14:15], v26, 24, v[50:51]
	v_mov_b32_e32 v38, v27
	v_mad_u64_u32 v[38:39], s[14:15], v35, 24, v[38:39]
	v_mov_b32_e32 v27, v38
	global_load_dwordx2 v[26:27], v[26:27], off sc0 sc1
	s_waitcnt vmcnt(0)
	global_atomic_cmpswap_x2 v[38:39], v31, v[26:29], s[2:3] offset:24 sc0 sc1
	s_waitcnt vmcnt(0)
	buffer_inv sc0 sc1
	v_cmp_eq_u64_e32 vcc, v[38:39], v[28:29]
	s_or_b64 s[12:13], vcc, s[12:13]
	s_andn2_b64 exec, exec, s[12:13]
	s_cbranch_execnz .LBB10_89
; %bb.90:                               ;   in Loop: Header=BB10_30 Depth=1
	s_or_b64 exec, exec, s[12:13]
.LBB10_91:                              ;   in Loop: Header=BB10_30 Depth=1
	s_or_b64 exec, exec, s[10:11]
.LBB10_92:                              ;   in Loop: Header=BB10_30 Depth=1
	s_or_b64 exec, exec, s[6:7]
	global_load_dwordx2 v[50:51], v31, s[2:3] offset:40
	global_load_dwordx4 v[26:29], v31, s[2:3]
	v_readfirstlane_b32 s7, v39
	v_readfirstlane_b32 s6, v38
	s_mov_b64 s[10:11], exec
	s_waitcnt vmcnt(1)
	v_readfirstlane_b32 s12, v50
	v_readfirstlane_b32 s13, v51
	s_and_b64 s[12:13], s[12:13], s[6:7]
	s_mul_i32 s14, s13, 24
	s_mul_hi_u32 s15, s12, 24
	s_add_i32 s15, s15, s14
	s_mul_i32 s14, s12, 24
	s_waitcnt vmcnt(0)
	v_lshl_add_u64 v[38:39], v[26:27], 0, s[14:15]
	s_and_saveexec_b64 s[14:15], s[0:1]
	s_cbranch_execz .LBB10_94
; %bb.93:                               ;   in Loop: Header=BB10_30 Depth=1
	v_mov_b64_e32 v[50:51], s[10:11]
	global_store_dwordx4 v[38:39], v[50:53], off offset:8
.LBB10_94:                              ;   in Loop: Header=BB10_30 Depth=1
	s_or_b64 exec, exec, s[14:15]
	v_cmp_gt_u64_e32 vcc, 57, v[0:1]
	s_lshl_b64 s[10:11], s[12:13], 12
	v_and_b32_e32 v8, 0xffffff1f, v8
	v_cndmask_b32_e32 v35, 0, v34, vcc
	v_lshl_add_u64 v[28:29], v[28:29], 0, s[10:11]
	v_lshl_add_u32 v49, v36, 2, 28
	v_or_b32_e32 v8, v8, v35
	v_and_or_b32 v8, v49, s17, v8
	v_readfirstlane_b32 s10, v28
	v_readfirstlane_b32 s11, v29
	s_nop 4
	global_store_dwordx4 v30, v[8:11], s[10:11]
	global_store_dwordx4 v30, v[14:17], s[10:11] offset:16
	global_store_dwordx4 v30, v[18:21], s[10:11] offset:32
	;; [unrolled: 1-line block ×3, first 2 shown]
	s_and_saveexec_b64 s[10:11], s[0:1]
	s_cbranch_execz .LBB10_102
; %bb.95:                               ;   in Loop: Header=BB10_30 Depth=1
	global_load_dwordx2 v[18:19], v31, s[2:3] offset:32 sc0 sc1
	global_load_dwordx2 v[8:9], v31, s[2:3] offset:40
	v_mov_b32_e32 v16, s6
	v_mov_b32_e32 v17, s7
	s_waitcnt vmcnt(0)
	v_readfirstlane_b32 s12, v8
	v_readfirstlane_b32 s13, v9
	s_and_b64 s[12:13], s[12:13], s[6:7]
	s_mul_i32 s13, s13, 24
	s_mul_hi_u32 s14, s12, 24
	s_mul_i32 s12, s12, 24
	s_add_i32 s13, s14, s13
	v_lshl_add_u64 v[14:15], v[26:27], 0, s[12:13]
	global_store_dwordx2 v[14:15], v[18:19], off
	buffer_wbl2 sc0 sc1
	s_waitcnt vmcnt(0)
	global_atomic_cmpswap_x2 v[10:11], v31, v[16:19], s[2:3] offset:32 sc0 sc1
	s_waitcnt vmcnt(0)
	v_cmp_ne_u64_e32 vcc, v[10:11], v[18:19]
	s_and_saveexec_b64 s[12:13], vcc
	s_cbranch_execz .LBB10_98
; %bb.96:                               ;   in Loop: Header=BB10_30 Depth=1
	s_mov_b64 s[14:15], 0
.LBB10_97:                              ;   Parent Loop BB10_30 Depth=1
                                        ; =>  This Inner Loop Header: Depth=2
	s_sleep 1
	global_store_dwordx2 v[14:15], v[10:11], off
	v_mov_b32_e32 v8, s6
	v_mov_b32_e32 v9, s7
	buffer_wbl2 sc0 sc1
	s_waitcnt vmcnt(0)
	global_atomic_cmpswap_x2 v[8:9], v31, v[8:11], s[2:3] offset:32 sc0 sc1
	s_waitcnt vmcnt(0)
	v_cmp_eq_u64_e32 vcc, v[8:9], v[10:11]
	s_or_b64 s[14:15], vcc, s[14:15]
	v_mov_b64_e32 v[10:11], v[8:9]
	s_andn2_b64 exec, exec, s[14:15]
	s_cbranch_execnz .LBB10_97
.LBB10_98:                              ;   in Loop: Header=BB10_30 Depth=1
	s_or_b64 exec, exec, s[12:13]
	global_load_dwordx2 v[8:9], v31, s[2:3] offset:16
	s_mov_b64 s[14:15], exec
	v_mbcnt_lo_u32_b32 v10, s14, 0
	v_mbcnt_hi_u32_b32 v10, s15, v10
	v_cmp_eq_u32_e32 vcc, 0, v10
	s_and_saveexec_b64 s[12:13], vcc
	s_cbranch_execz .LBB10_100
; %bb.99:                               ;   in Loop: Header=BB10_30 Depth=1
	s_bcnt1_i32_b64 s14, s[14:15]
	v_mov_b32_e32 v10, s14
	v_mov_b32_e32 v11, v31
	buffer_wbl2 sc0 sc1
	s_waitcnt vmcnt(0)
	global_atomic_add_x2 v[8:9], v[10:11], off offset:8 sc1
.LBB10_100:                             ;   in Loop: Header=BB10_30 Depth=1
	s_or_b64 exec, exec, s[12:13]
	s_waitcnt vmcnt(0)
	global_load_dwordx2 v[10:11], v[8:9], off offset:16
	s_waitcnt vmcnt(0)
	v_cmp_eq_u64_e32 vcc, 0, v[10:11]
	s_cbranch_vccnz .LBB10_102
; %bb.101:                              ;   in Loop: Header=BB10_30 Depth=1
	global_load_dword v8, v[8:9], off offset:24
	v_mov_b32_e32 v9, v31
	s_waitcnt vmcnt(0)
	v_readfirstlane_b32 s12, v8
	s_and_b32 m0, s12, 0xffffff
	buffer_wbl2 sc0 sc1
	global_store_dwordx2 v[10:11], v[8:9], off sc0 sc1
	s_sendmsg sendmsg(MSG_INTERRUPT)
.LBB10_102:                             ;   in Loop: Header=BB10_30 Depth=1
	s_or_b64 exec, exec, s[10:11]
	v_lshl_add_u64 v[8:9], v[28:29], 0, v[30:31]
	s_branch .LBB10_106
.LBB10_103:                             ;   in Loop: Header=BB10_106 Depth=2
	s_or_b64 exec, exec, s[10:11]
	v_readfirstlane_b32 s10, v10
	s_cmp_eq_u32 s10, 0
	s_cbranch_scc1 .LBB10_105
; %bb.104:                              ;   in Loop: Header=BB10_106 Depth=2
	s_sleep 1
	s_cbranch_execnz .LBB10_106
	s_branch .LBB10_108
.LBB10_105:                             ;   in Loop: Header=BB10_30 Depth=1
	s_branch .LBB10_108
.LBB10_106:                             ;   Parent Loop BB10_30 Depth=1
                                        ; =>  This Inner Loop Header: Depth=2
	v_mov_b32_e32 v10, 1
	s_and_saveexec_b64 s[10:11], s[0:1]
	s_cbranch_execz .LBB10_103
; %bb.107:                              ;   in Loop: Header=BB10_106 Depth=2
	global_load_dword v10, v[38:39], off offset:20 sc0 sc1
	s_waitcnt vmcnt(0)
	buffer_inv sc0 sc1
	v_and_b32_e32 v10, 1, v10
	s_branch .LBB10_103
.LBB10_108:                             ;   in Loop: Header=BB10_30 Depth=1
	global_load_dwordx2 v[8:9], v[8:9], off
	s_and_saveexec_b64 s[10:11], s[0:1]
	s_cbranch_execz .LBB10_29
; %bb.109:                              ;   in Loop: Header=BB10_30 Depth=1
	global_load_dwordx2 v[10:11], v31, s[2:3] offset:40
	global_load_dwordx2 v[18:19], v31, s[2:3] offset:24 sc0 sc1
	global_load_dwordx2 v[14:15], v31, s[2:3]
	s_waitcnt vmcnt(2)
	v_readfirstlane_b32 s12, v10
	v_readfirstlane_b32 s13, v11
	s_add_u32 s14, s12, 1
	s_addc_u32 s15, s13, 0
	s_add_u32 s0, s14, s6
	s_addc_u32 s1, s15, s7
	s_cmp_eq_u64 s[0:1], 0
	s_cselect_b32 s1, s15, s1
	s_cselect_b32 s0, s14, s0
	s_and_b64 s[6:7], s[0:1], s[12:13]
	s_mul_i32 s7, s7, 24
	s_mul_hi_u32 s12, s6, 24
	s_mul_i32 s6, s6, 24
	s_add_i32 s7, s12, s7
	s_waitcnt vmcnt(0)
	v_lshl_add_u64 v[10:11], v[14:15], 0, s[6:7]
	v_mov_b32_e32 v16, s0
	global_store_dwordx2 v[10:11], v[18:19], off
	v_mov_b32_e32 v17, s1
	buffer_wbl2 sc0 sc1
	s_waitcnt vmcnt(0)
	global_atomic_cmpswap_x2 v[16:17], v31, v[16:19], s[2:3] offset:24 sc0 sc1
	s_waitcnt vmcnt(0)
	v_cmp_ne_u64_e32 vcc, v[16:17], v[18:19]
	s_and_b64 exec, exec, vcc
	s_cbranch_execz .LBB10_29
; %bb.110:                              ;   in Loop: Header=BB10_30 Depth=1
	s_mov_b64 s[6:7], 0
.LBB10_111:                             ;   Parent Loop BB10_30 Depth=1
                                        ; =>  This Inner Loop Header: Depth=2
	s_sleep 1
	global_store_dwordx2 v[10:11], v[16:17], off
	v_mov_b32_e32 v14, s0
	v_mov_b32_e32 v15, s1
	buffer_wbl2 sc0 sc1
	s_waitcnt vmcnt(0)
	global_atomic_cmpswap_x2 v[14:15], v31, v[14:17], s[2:3] offset:24 sc0 sc1
	s_waitcnt vmcnt(0)
	v_cmp_eq_u64_e32 vcc, v[14:15], v[16:17]
	s_or_b64 s[6:7], vcc, s[6:7]
	v_mov_b64_e32 v[16:17], v[14:15]
	s_andn2_b64 exec, exec, s[6:7]
	s_cbranch_execnz .LBB10_111
	s_branch .LBB10_29
.LBB10_112:
                                        ; implicit-def: $vgpr8_vgpr9
	s_cbranch_execnz .LBB10_114
	s_branch .LBB10_140
.LBB10_113:
	s_or_b64 exec, exec, s[4:5]
	s_branch .LBB10_140
.LBB10_114:
	v_readfirstlane_b32 s0, v48
	v_mov_b64_e32 v[0:1], 0
	s_nop 0
	v_cmp_eq_u32_e64 s[0:1], s0, v48
	s_and_saveexec_b64 s[4:5], s[0:1]
	s_cbranch_execz .LBB10_120
; %bb.115:
	v_mov_b32_e32 v5, 0
	global_load_dwordx2 v[10:11], v5, s[2:3] offset:24 sc0 sc1
	s_waitcnt vmcnt(0)
	buffer_inv sc0 sc1
	global_load_dwordx2 v[0:1], v5, s[2:3] offset:40
	global_load_dwordx2 v[8:9], v5, s[2:3]
	s_waitcnt vmcnt(1)
	v_and_b32_e32 v0, v0, v10
	v_and_b32_e32 v1, v1, v11
	v_mul_lo_u32 v1, v1, 24
	v_mul_hi_u32 v14, v0, 24
	v_add_u32_e32 v1, v14, v1
	v_mul_lo_u32 v0, v0, 24
	s_waitcnt vmcnt(0)
	v_lshl_add_u64 v[0:1], v[8:9], 0, v[0:1]
	global_load_dwordx2 v[8:9], v[0:1], off sc0 sc1
	s_waitcnt vmcnt(0)
	global_atomic_cmpswap_x2 v[0:1], v5, v[8:11], s[2:3] offset:24 sc0 sc1
	s_waitcnt vmcnt(0)
	buffer_inv sc0 sc1
	v_cmp_ne_u64_e32 vcc, v[0:1], v[10:11]
	s_and_saveexec_b64 s[6:7], vcc
	s_cbranch_execz .LBB10_119
; %bb.116:
	s_mov_b64 s[10:11], 0
.LBB10_117:                             ; =>This Inner Loop Header: Depth=1
	s_sleep 1
	global_load_dwordx2 v[8:9], v5, s[2:3] offset:40
	global_load_dwordx2 v[14:15], v5, s[2:3]
	v_mov_b64_e32 v[10:11], v[0:1]
	s_waitcnt vmcnt(1)
	v_and_b32_e32 v0, v8, v10
	s_waitcnt vmcnt(0)
	v_mad_u64_u32 v[0:1], s[12:13], v0, 24, v[14:15]
	v_and_b32_e32 v9, v9, v11
	v_mov_b32_e32 v8, v1
	v_mad_u64_u32 v[8:9], s[12:13], v9, 24, v[8:9]
	v_mov_b32_e32 v1, v8
	global_load_dwordx2 v[8:9], v[0:1], off sc0 sc1
	s_waitcnt vmcnt(0)
	global_atomic_cmpswap_x2 v[0:1], v5, v[8:11], s[2:3] offset:24 sc0 sc1
	s_waitcnt vmcnt(0)
	buffer_inv sc0 sc1
	v_cmp_eq_u64_e32 vcc, v[0:1], v[10:11]
	s_or_b64 s[10:11], vcc, s[10:11]
	s_andn2_b64 exec, exec, s[10:11]
	s_cbranch_execnz .LBB10_117
; %bb.118:
	s_or_b64 exec, exec, s[10:11]
.LBB10_119:
	s_or_b64 exec, exec, s[6:7]
.LBB10_120:
	s_or_b64 exec, exec, s[4:5]
	v_mov_b32_e32 v31, 0
	global_load_dwordx2 v[14:15], v31, s[2:3] offset:40
	global_load_dwordx4 v[8:11], v31, s[2:3]
	v_readfirstlane_b32 s5, v1
	v_readfirstlane_b32 s4, v0
	s_mov_b64 s[6:7], exec
	s_waitcnt vmcnt(1)
	v_readfirstlane_b32 s10, v14
	v_readfirstlane_b32 s11, v15
	s_and_b64 s[10:11], s[10:11], s[4:5]
	s_mul_i32 s12, s11, 24
	s_mul_hi_u32 s13, s10, 24
	s_add_i32 s13, s13, s12
	s_mul_i32 s12, s10, 24
	s_waitcnt vmcnt(0)
	v_lshl_add_u64 v[0:1], v[8:9], 0, s[12:13]
	s_and_saveexec_b64 s[12:13], s[0:1]
	s_cbranch_execz .LBB10_122
; %bb.121:
	v_mov_b64_e32 v[14:15], s[6:7]
	v_mov_b32_e32 v16, 2
	v_mov_b32_e32 v17, 1
	global_store_dwordx4 v[0:1], v[14:17], off offset:8
.LBB10_122:
	s_or_b64 exec, exec, s[12:13]
	s_lshl_b64 s[6:7], s[10:11], 12
	v_lshl_add_u64 v[16:17], v[10:11], 0, s[6:7]
	s_movk_i32 s6, 0xff1f
	s_mov_b32 s12, 0
	v_and_or_b32 v12, v12, s6, 32
	v_mov_b32_e32 v14, v31
	v_mov_b32_e32 v15, v31
	v_readfirstlane_b32 s6, v16
	v_readfirstlane_b32 s7, v17
	s_mov_b32 s13, s12
	s_mov_b32 s14, s12
	;; [unrolled: 1-line block ×3, first 2 shown]
	s_nop 1
	global_store_dwordx4 v30, v[12:15], s[6:7]
	v_mov_b64_e32 v[10:11], s[12:13]
	s_nop 0
	v_mov_b64_e32 v[12:13], s[14:15]
	global_store_dwordx4 v30, v[10:13], s[6:7] offset:16
	global_store_dwordx4 v30, v[10:13], s[6:7] offset:32
	;; [unrolled: 1-line block ×3, first 2 shown]
	s_and_saveexec_b64 s[6:7], s[0:1]
	s_cbranch_execz .LBB10_130
; %bb.123:
	v_mov_b32_e32 v5, 0
	global_load_dwordx2 v[20:21], v5, s[2:3] offset:32 sc0 sc1
	global_load_dwordx2 v[10:11], v5, s[2:3] offset:40
	v_mov_b32_e32 v18, s4
	v_mov_b32_e32 v19, s5
	s_waitcnt vmcnt(0)
	v_readfirstlane_b32 s10, v10
	v_readfirstlane_b32 s11, v11
	s_and_b64 s[10:11], s[10:11], s[4:5]
	s_mul_i32 s11, s11, 24
	s_mul_hi_u32 s12, s10, 24
	s_mul_i32 s10, s10, 24
	s_add_i32 s11, s12, s11
	v_lshl_add_u64 v[12:13], v[8:9], 0, s[10:11]
	global_store_dwordx2 v[12:13], v[20:21], off
	buffer_wbl2 sc0 sc1
	s_waitcnt vmcnt(0)
	global_atomic_cmpswap_x2 v[10:11], v5, v[18:21], s[2:3] offset:32 sc0 sc1
	s_waitcnt vmcnt(0)
	v_cmp_ne_u64_e32 vcc, v[10:11], v[20:21]
	s_and_saveexec_b64 s[10:11], vcc
	s_cbranch_execz .LBB10_126
; %bb.124:
	s_mov_b64 s[12:13], 0
.LBB10_125:                             ; =>This Inner Loop Header: Depth=1
	s_sleep 1
	global_store_dwordx2 v[12:13], v[10:11], off
	v_mov_b32_e32 v8, s4
	v_mov_b32_e32 v9, s5
	buffer_wbl2 sc0 sc1
	s_waitcnt vmcnt(0)
	global_atomic_cmpswap_x2 v[8:9], v5, v[8:11], s[2:3] offset:32 sc0 sc1
	s_waitcnt vmcnt(0)
	v_cmp_eq_u64_e32 vcc, v[8:9], v[10:11]
	s_or_b64 s[12:13], vcc, s[12:13]
	v_mov_b64_e32 v[10:11], v[8:9]
	s_andn2_b64 exec, exec, s[12:13]
	s_cbranch_execnz .LBB10_125
.LBB10_126:
	s_or_b64 exec, exec, s[10:11]
	v_mov_b32_e32 v11, 0
	global_load_dwordx2 v[8:9], v11, s[2:3] offset:16
	s_mov_b64 s[10:11], exec
	v_mbcnt_lo_u32_b32 v5, s10, 0
	v_mbcnt_hi_u32_b32 v5, s11, v5
	v_cmp_eq_u32_e32 vcc, 0, v5
	s_and_saveexec_b64 s[12:13], vcc
	s_cbranch_execz .LBB10_128
; %bb.127:
	s_bcnt1_i32_b64 s10, s[10:11]
	v_mov_b32_e32 v10, s10
	buffer_wbl2 sc0 sc1
	s_waitcnt vmcnt(0)
	global_atomic_add_x2 v[8:9], v[10:11], off offset:8 sc1
.LBB10_128:
	s_or_b64 exec, exec, s[12:13]
	s_waitcnt vmcnt(0)
	global_load_dwordx2 v[10:11], v[8:9], off offset:16
	s_waitcnt vmcnt(0)
	v_cmp_eq_u64_e32 vcc, 0, v[10:11]
	s_cbranch_vccnz .LBB10_130
; %bb.129:
	global_load_dword v8, v[8:9], off offset:24
	v_mov_b32_e32 v9, 0
	s_waitcnt vmcnt(0)
	v_readfirstlane_b32 s10, v8
	s_and_b32 m0, s10, 0xffffff
	buffer_wbl2 sc0 sc1
	global_store_dwordx2 v[10:11], v[8:9], off sc0 sc1
	s_sendmsg sendmsg(MSG_INTERRUPT)
.LBB10_130:
	s_or_b64 exec, exec, s[6:7]
	v_lshl_add_u64 v[8:9], v[16:17], 0, v[30:31]
	s_branch .LBB10_134
.LBB10_131:                             ;   in Loop: Header=BB10_134 Depth=1
	s_or_b64 exec, exec, s[6:7]
	v_readfirstlane_b32 s6, v5
	s_cmp_eq_u32 s6, 0
	s_cbranch_scc1 .LBB10_133
; %bb.132:                              ;   in Loop: Header=BB10_134 Depth=1
	s_sleep 1
	s_cbranch_execnz .LBB10_134
	s_branch .LBB10_136
.LBB10_133:
	s_branch .LBB10_136
.LBB10_134:                             ; =>This Inner Loop Header: Depth=1
	v_mov_b32_e32 v5, 1
	s_and_saveexec_b64 s[6:7], s[0:1]
	s_cbranch_execz .LBB10_131
; %bb.135:                              ;   in Loop: Header=BB10_134 Depth=1
	global_load_dword v5, v[0:1], off offset:20 sc0 sc1
	s_waitcnt vmcnt(0)
	buffer_inv sc0 sc1
	v_and_b32_e32 v5, 1, v5
	s_branch .LBB10_131
.LBB10_136:
	global_load_dwordx2 v[8:9], v[8:9], off
	s_and_saveexec_b64 s[6:7], s[0:1]
	s_cbranch_execz .LBB10_139
; %bb.137:
	v_mov_b32_e32 v5, 0
	global_load_dwordx2 v[0:1], v5, s[2:3] offset:40
	global_load_dwordx2 v[14:15], v5, s[2:3] offset:24 sc0 sc1
	global_load_dwordx2 v[10:11], v5, s[2:3]
	s_waitcnt vmcnt(2)
	v_readfirstlane_b32 s10, v0
	v_readfirstlane_b32 s11, v1
	s_add_u32 s12, s10, 1
	s_addc_u32 s13, s11, 0
	s_add_u32 s0, s12, s4
	s_addc_u32 s1, s13, s5
	s_cmp_eq_u64 s[0:1], 0
	s_cselect_b32 s1, s13, s1
	s_cselect_b32 s0, s12, s0
	s_and_b64 s[4:5], s[0:1], s[10:11]
	s_mul_i32 s5, s5, 24
	s_mul_hi_u32 s10, s4, 24
	s_mul_i32 s4, s4, 24
	s_add_i32 s5, s10, s5
	s_waitcnt vmcnt(0)
	v_lshl_add_u64 v[0:1], v[10:11], 0, s[4:5]
	v_mov_b32_e32 v12, s0
	global_store_dwordx2 v[0:1], v[14:15], off
	v_mov_b32_e32 v13, s1
	buffer_wbl2 sc0 sc1
	s_waitcnt vmcnt(0)
	global_atomic_cmpswap_x2 v[12:13], v5, v[12:15], s[2:3] offset:24 sc0 sc1
	s_mov_b64 s[4:5], 0
	s_waitcnt vmcnt(0)
	v_cmp_ne_u64_e32 vcc, v[12:13], v[14:15]
	s_and_b64 exec, exec, vcc
	s_cbranch_execz .LBB10_139
.LBB10_138:                             ; =>This Inner Loop Header: Depth=1
	s_sleep 1
	global_store_dwordx2 v[0:1], v[12:13], off
	v_mov_b32_e32 v10, s0
	v_mov_b32_e32 v11, s1
	buffer_wbl2 sc0 sc1
	s_waitcnt vmcnt(0)
	global_atomic_cmpswap_x2 v[10:11], v5, v[10:13], s[2:3] offset:24 sc0 sc1
	s_waitcnt vmcnt(0)
	v_cmp_eq_u64_e32 vcc, v[10:11], v[12:13]
	s_or_b64 s[4:5], vcc, s[4:5]
	v_mov_b64_e32 v[12:13], v[10:11]
	s_andn2_b64 exec, exec, s[4:5]
	s_cbranch_execnz .LBB10_138
.LBB10_139:
	s_or_b64 exec, exec, s[6:7]
.LBB10_140:
	s_mov_b64 s[0:1], 0
	v_mov_b64_e32 v[0:1], v[2:3]
.LBB10_141:                             ; =>This Inner Loop Header: Depth=1
	global_load_ubyte v5, v[0:1], off
	v_lshl_add_u64 v[0:1], v[0:1], 0, 1
	s_waitcnt vmcnt(0)
	v_cmp_eq_u16_e32 vcc, 0, v5
	s_or_b64 s[0:1], vcc, s[0:1]
	s_andn2_b64 exec, exec, s[0:1]
	s_cbranch_execnz .LBB10_141
; %bb.142:
	s_or_b64 exec, exec, s[0:1]
	s_mov_b64 s[4:5], 0
	v_cmp_ne_u64_e32 vcc, 0, v[2:3]
	s_and_saveexec_b64 s[0:1], vcc
	s_xor_b64 s[6:7], exec, s[0:1]
	s_cbranch_execz .LBB10_228
; %bb.143:
	v_sub_u32_e32 v0, v0, v2
	v_ashrrev_i32_e32 v1, 31, v0
	v_and_b32_e32 v28, 2, v8
	v_mov_b32_e32 v31, 0
	v_and_b32_e32 v8, -3, v8
	s_mov_b32 s18, 0
	s_movk_i32 s19, 0x1e0
	v_mov_b32_e32 v52, 2
	v_mov_b32_e32 v53, 1
	s_branch .LBB10_145
.LBB10_144:                             ;   in Loop: Header=BB10_145 Depth=1
	s_or_b64 exec, exec, s[12:13]
	v_sub_co_u32_e32 v0, vcc, v0, v34
	v_lshl_add_u64 v[2:3], v[2:3], 0, v[34:35]
	s_nop 0
	v_subb_co_u32_e32 v1, vcc, v1, v35, vcc
	v_cmp_eq_u64_e32 vcc, 0, v[0:1]
	s_or_b64 s[4:5], vcc, s[4:5]
	s_andn2_b64 exec, exec, s[4:5]
	s_cbranch_execz .LBB10_227
.LBB10_145:                             ; =>This Loop Header: Depth=1
                                        ;     Child Loop BB10_148 Depth 2
                                        ;     Child Loop BB10_156 Depth 2
	;; [unrolled: 1-line block ×11, first 2 shown]
	v_cmp_gt_u64_e32 vcc, 56, v[0:1]
	v_lshl_add_u64 v[14:15], v[2:3], 0, 8
	s_nop 0
	v_cndmask_b32_e32 v35, 0, v1, vcc
	v_cndmask_b32_e32 v34, 56, v0, vcc
	v_cmp_gt_u64_e32 vcc, 8, v[0:1]
	s_and_saveexec_b64 s[0:1], vcc
	s_xor_b64 s[0:1], exec, s[0:1]
	s_cbranch_execz .LBB10_151
; %bb.146:                              ;   in Loop: Header=BB10_145 Depth=1
	v_mov_b64_e32 v[10:11], 0
	v_cmp_ne_u64_e32 vcc, 0, v[0:1]
	s_and_saveexec_b64 s[10:11], vcc
	s_cbranch_execz .LBB10_150
; %bb.147:                              ;   in Loop: Header=BB10_145 Depth=1
	v_lshlrev_b64 v[12:13], 3, v[34:35]
	s_mov_b64 s[12:13], 0
	v_mov_b64_e32 v[10:11], 0
	v_mov_b64_e32 v[14:15], v[2:3]
	s_mov_b64 s[14:15], 0
.LBB10_148:                             ;   Parent Loop BB10_145 Depth=1
                                        ; =>  This Inner Loop Header: Depth=2
	global_load_ubyte v5, v[14:15], off
	v_mov_b32_e32 v17, s18
	v_lshl_add_u64 v[14:15], v[14:15], 0, 1
	s_waitcnt vmcnt(0)
	v_and_b32_e32 v16, 0xffff, v5
	v_lshlrev_b64 v[16:17], s14, v[16:17]
	s_add_u32 s14, s14, 8
	s_addc_u32 s15, s15, 0
	v_cmp_eq_u32_e32 vcc, s14, v12
	v_or_b32_e32 v11, v17, v11
	s_or_b64 s[12:13], vcc, s[12:13]
	v_or_b32_e32 v10, v16, v10
	s_andn2_b64 exec, exec, s[12:13]
	s_cbranch_execnz .LBB10_148
; %bb.149:                              ;   in Loop: Header=BB10_145 Depth=1
	s_or_b64 exec, exec, s[12:13]
.LBB10_150:                             ;   in Loop: Header=BB10_145 Depth=1
	s_or_b64 exec, exec, s[10:11]
	v_mov_b64_e32 v[14:15], v[2:3]
.LBB10_151:                             ;   in Loop: Header=BB10_145 Depth=1
	s_or_saveexec_b64 s[0:1], s[0:1]
	v_mov_b32_e32 v5, 0
	s_xor_b64 exec, exec, s[0:1]
	s_cbranch_execz .LBB10_153
; %bb.152:                              ;   in Loop: Header=BB10_145 Depth=1
	global_load_dwordx2 v[10:11], v[2:3], off
	v_add_u32_e32 v5, -8, v34
.LBB10_153:                             ;   in Loop: Header=BB10_145 Depth=1
	s_or_b64 exec, exec, s[0:1]
	v_cmp_gt_u32_e32 vcc, 8, v5
	v_lshl_add_u64 v[16:17], v[14:15], 0, 8
                                        ; implicit-def: $vgpr12_vgpr13
	s_and_saveexec_b64 s[0:1], vcc
	s_xor_b64 s[0:1], exec, s[0:1]
	s_cbranch_execz .LBB10_159
; %bb.154:                              ;   in Loop: Header=BB10_145 Depth=1
	v_cmp_ne_u32_e32 vcc, 0, v5
	v_mov_b64_e32 v[12:13], 0
	s_and_saveexec_b64 s[10:11], vcc
	s_cbranch_execz .LBB10_158
; %bb.155:                              ;   in Loop: Header=BB10_145 Depth=1
	s_mov_b64 s[12:13], 0
	v_mov_b64_e32 v[12:13], 0
	s_mov_b64 s[14:15], 0
	s_mov_b64 s[16:17], 0
.LBB10_156:                             ;   Parent Loop BB10_145 Depth=1
                                        ; =>  This Inner Loop Header: Depth=2
	v_lshl_add_u64 v[16:17], v[14:15], 0, s[16:17]
	global_load_ubyte v16, v[16:17], off
	s_add_u32 s16, s16, 1
	v_mov_b32_e32 v17, s18
	s_addc_u32 s17, s17, 0
	v_cmp_eq_u32_e32 vcc, s16, v5
	s_waitcnt vmcnt(0)
	v_and_b32_e32 v16, 0xffff, v16
	v_lshlrev_b64 v[16:17], s14, v[16:17]
	s_add_u32 s14, s14, 8
	s_addc_u32 s15, s15, 0
	v_or_b32_e32 v13, v17, v13
	s_or_b64 s[12:13], vcc, s[12:13]
	v_or_b32_e32 v12, v16, v12
	s_andn2_b64 exec, exec, s[12:13]
	s_cbranch_execnz .LBB10_156
; %bb.157:                              ;   in Loop: Header=BB10_145 Depth=1
	s_or_b64 exec, exec, s[12:13]
.LBB10_158:                             ;   in Loop: Header=BB10_145 Depth=1
	s_or_b64 exec, exec, s[10:11]
	v_mov_b64_e32 v[16:17], v[14:15]
                                        ; implicit-def: $vgpr5
.LBB10_159:                             ;   in Loop: Header=BB10_145 Depth=1
	s_or_saveexec_b64 s[0:1], s[0:1]
	v_mov_b32_e32 v20, 0
	s_xor_b64 exec, exec, s[0:1]
	s_cbranch_execz .LBB10_161
; %bb.160:                              ;   in Loop: Header=BB10_145 Depth=1
	global_load_dwordx2 v[12:13], v[14:15], off
	v_add_u32_e32 v20, -8, v5
.LBB10_161:                             ;   in Loop: Header=BB10_145 Depth=1
	s_or_b64 exec, exec, s[0:1]
	v_cmp_gt_u32_e32 vcc, 8, v20
	v_lshl_add_u64 v[18:19], v[16:17], 0, 8
	s_and_saveexec_b64 s[0:1], vcc
	s_xor_b64 s[0:1], exec, s[0:1]
	s_cbranch_execz .LBB10_167
; %bb.162:                              ;   in Loop: Header=BB10_145 Depth=1
	v_cmp_ne_u32_e32 vcc, 0, v20
	v_mov_b64_e32 v[14:15], 0
	s_and_saveexec_b64 s[10:11], vcc
	s_cbranch_execz .LBB10_166
; %bb.163:                              ;   in Loop: Header=BB10_145 Depth=1
	s_mov_b64 s[12:13], 0
	v_mov_b64_e32 v[14:15], 0
	s_mov_b64 s[14:15], 0
	s_mov_b64 s[16:17], 0
.LBB10_164:                             ;   Parent Loop BB10_145 Depth=1
                                        ; =>  This Inner Loop Header: Depth=2
	v_lshl_add_u64 v[18:19], v[16:17], 0, s[16:17]
	global_load_ubyte v5, v[18:19], off
	s_add_u32 s16, s16, 1
	v_mov_b32_e32 v19, s18
	s_addc_u32 s17, s17, 0
	v_cmp_eq_u32_e32 vcc, s16, v20
	s_waitcnt vmcnt(0)
	v_and_b32_e32 v18, 0xffff, v5
	v_lshlrev_b64 v[18:19], s14, v[18:19]
	s_add_u32 s14, s14, 8
	s_addc_u32 s15, s15, 0
	v_or_b32_e32 v15, v19, v15
	s_or_b64 s[12:13], vcc, s[12:13]
	v_or_b32_e32 v14, v18, v14
	s_andn2_b64 exec, exec, s[12:13]
	s_cbranch_execnz .LBB10_164
; %bb.165:                              ;   in Loop: Header=BB10_145 Depth=1
	s_or_b64 exec, exec, s[12:13]
.LBB10_166:                             ;   in Loop: Header=BB10_145 Depth=1
	s_or_b64 exec, exec, s[10:11]
	v_mov_b64_e32 v[18:19], v[16:17]
                                        ; implicit-def: $vgpr20
.LBB10_167:                             ;   in Loop: Header=BB10_145 Depth=1
	s_or_saveexec_b64 s[0:1], s[0:1]
	v_mov_b32_e32 v5, 0
	s_xor_b64 exec, exec, s[0:1]
	s_cbranch_execz .LBB10_169
; %bb.168:                              ;   in Loop: Header=BB10_145 Depth=1
	global_load_dwordx2 v[14:15], v[16:17], off
	v_add_u32_e32 v5, -8, v20
.LBB10_169:                             ;   in Loop: Header=BB10_145 Depth=1
	s_or_b64 exec, exec, s[0:1]
	v_cmp_gt_u32_e32 vcc, 8, v5
	v_lshl_add_u64 v[20:21], v[18:19], 0, 8
                                        ; implicit-def: $vgpr16_vgpr17
	s_and_saveexec_b64 s[0:1], vcc
	s_xor_b64 s[0:1], exec, s[0:1]
	s_cbranch_execz .LBB10_175
; %bb.170:                              ;   in Loop: Header=BB10_145 Depth=1
	v_cmp_ne_u32_e32 vcc, 0, v5
	v_mov_b64_e32 v[16:17], 0
	s_and_saveexec_b64 s[10:11], vcc
	s_cbranch_execz .LBB10_174
; %bb.171:                              ;   in Loop: Header=BB10_145 Depth=1
	s_mov_b64 s[12:13], 0
	v_mov_b64_e32 v[16:17], 0
	s_mov_b64 s[14:15], 0
	s_mov_b64 s[16:17], 0
.LBB10_172:                             ;   Parent Loop BB10_145 Depth=1
                                        ; =>  This Inner Loop Header: Depth=2
	v_lshl_add_u64 v[20:21], v[18:19], 0, s[16:17]
	global_load_ubyte v20, v[20:21], off
	s_add_u32 s16, s16, 1
	v_mov_b32_e32 v21, s18
	s_addc_u32 s17, s17, 0
	v_cmp_eq_u32_e32 vcc, s16, v5
	s_waitcnt vmcnt(0)
	v_and_b32_e32 v20, 0xffff, v20
	v_lshlrev_b64 v[20:21], s14, v[20:21]
	s_add_u32 s14, s14, 8
	s_addc_u32 s15, s15, 0
	v_or_b32_e32 v17, v21, v17
	s_or_b64 s[12:13], vcc, s[12:13]
	v_or_b32_e32 v16, v20, v16
	s_andn2_b64 exec, exec, s[12:13]
	s_cbranch_execnz .LBB10_172
; %bb.173:                              ;   in Loop: Header=BB10_145 Depth=1
	s_or_b64 exec, exec, s[12:13]
.LBB10_174:                             ;   in Loop: Header=BB10_145 Depth=1
	s_or_b64 exec, exec, s[10:11]
	v_mov_b64_e32 v[20:21], v[18:19]
                                        ; implicit-def: $vgpr5
.LBB10_175:                             ;   in Loop: Header=BB10_145 Depth=1
	s_or_saveexec_b64 s[0:1], s[0:1]
	v_mov_b32_e32 v24, 0
	s_xor_b64 exec, exec, s[0:1]
	s_cbranch_execz .LBB10_177
; %bb.176:                              ;   in Loop: Header=BB10_145 Depth=1
	global_load_dwordx2 v[16:17], v[18:19], off
	v_add_u32_e32 v24, -8, v5
.LBB10_177:                             ;   in Loop: Header=BB10_145 Depth=1
	s_or_b64 exec, exec, s[0:1]
	v_cmp_gt_u32_e32 vcc, 8, v24
	v_lshl_add_u64 v[22:23], v[20:21], 0, 8
	s_and_saveexec_b64 s[0:1], vcc
	s_xor_b64 s[0:1], exec, s[0:1]
	s_cbranch_execz .LBB10_183
; %bb.178:                              ;   in Loop: Header=BB10_145 Depth=1
	v_cmp_ne_u32_e32 vcc, 0, v24
	v_mov_b64_e32 v[18:19], 0
	s_and_saveexec_b64 s[10:11], vcc
	s_cbranch_execz .LBB10_182
; %bb.179:                              ;   in Loop: Header=BB10_145 Depth=1
	s_mov_b64 s[12:13], 0
	v_mov_b64_e32 v[18:19], 0
	s_mov_b64 s[14:15], 0
	s_mov_b64 s[16:17], 0
.LBB10_180:                             ;   Parent Loop BB10_145 Depth=1
                                        ; =>  This Inner Loop Header: Depth=2
	v_lshl_add_u64 v[22:23], v[20:21], 0, s[16:17]
	global_load_ubyte v5, v[22:23], off
	s_add_u32 s16, s16, 1
	v_mov_b32_e32 v23, s18
	s_addc_u32 s17, s17, 0
	v_cmp_eq_u32_e32 vcc, s16, v24
	s_waitcnt vmcnt(0)
	v_and_b32_e32 v22, 0xffff, v5
	v_lshlrev_b64 v[22:23], s14, v[22:23]
	s_add_u32 s14, s14, 8
	s_addc_u32 s15, s15, 0
	v_or_b32_e32 v19, v23, v19
	s_or_b64 s[12:13], vcc, s[12:13]
	v_or_b32_e32 v18, v22, v18
	s_andn2_b64 exec, exec, s[12:13]
	s_cbranch_execnz .LBB10_180
; %bb.181:                              ;   in Loop: Header=BB10_145 Depth=1
	s_or_b64 exec, exec, s[12:13]
.LBB10_182:                             ;   in Loop: Header=BB10_145 Depth=1
	s_or_b64 exec, exec, s[10:11]
	v_mov_b64_e32 v[22:23], v[20:21]
                                        ; implicit-def: $vgpr24
.LBB10_183:                             ;   in Loop: Header=BB10_145 Depth=1
	s_or_saveexec_b64 s[0:1], s[0:1]
	v_mov_b32_e32 v5, 0
	s_xor_b64 exec, exec, s[0:1]
	s_cbranch_execz .LBB10_185
; %bb.184:                              ;   in Loop: Header=BB10_145 Depth=1
	global_load_dwordx2 v[18:19], v[20:21], off
	v_add_u32_e32 v5, -8, v24
.LBB10_185:                             ;   in Loop: Header=BB10_145 Depth=1
	s_or_b64 exec, exec, s[0:1]
	v_cmp_gt_u32_e32 vcc, 8, v5
	v_lshl_add_u64 v[24:25], v[22:23], 0, 8
                                        ; implicit-def: $vgpr20_vgpr21
	s_and_saveexec_b64 s[0:1], vcc
	s_xor_b64 s[0:1], exec, s[0:1]
	s_cbranch_execz .LBB10_191
; %bb.186:                              ;   in Loop: Header=BB10_145 Depth=1
	v_cmp_ne_u32_e32 vcc, 0, v5
	v_mov_b64_e32 v[20:21], 0
	s_and_saveexec_b64 s[10:11], vcc
	s_cbranch_execz .LBB10_190
; %bb.187:                              ;   in Loop: Header=BB10_145 Depth=1
	s_mov_b64 s[12:13], 0
	v_mov_b64_e32 v[20:21], 0
	s_mov_b64 s[14:15], 0
	s_mov_b64 s[16:17], 0
.LBB10_188:                             ;   Parent Loop BB10_145 Depth=1
                                        ; =>  This Inner Loop Header: Depth=2
	v_lshl_add_u64 v[24:25], v[22:23], 0, s[16:17]
	global_load_ubyte v24, v[24:25], off
	s_add_u32 s16, s16, 1
	v_mov_b32_e32 v25, s18
	s_addc_u32 s17, s17, 0
	v_cmp_eq_u32_e32 vcc, s16, v5
	s_waitcnt vmcnt(0)
	v_and_b32_e32 v24, 0xffff, v24
	v_lshlrev_b64 v[24:25], s14, v[24:25]
	s_add_u32 s14, s14, 8
	s_addc_u32 s15, s15, 0
	v_or_b32_e32 v21, v25, v21
	s_or_b64 s[12:13], vcc, s[12:13]
	v_or_b32_e32 v20, v24, v20
	s_andn2_b64 exec, exec, s[12:13]
	s_cbranch_execnz .LBB10_188
; %bb.189:                              ;   in Loop: Header=BB10_145 Depth=1
	s_or_b64 exec, exec, s[12:13]
.LBB10_190:                             ;   in Loop: Header=BB10_145 Depth=1
	s_or_b64 exec, exec, s[10:11]
	v_mov_b64_e32 v[24:25], v[22:23]
                                        ; implicit-def: $vgpr5
.LBB10_191:                             ;   in Loop: Header=BB10_145 Depth=1
	s_or_saveexec_b64 s[0:1], s[0:1]
	v_mov_b32_e32 v26, 0
	s_xor_b64 exec, exec, s[0:1]
	s_cbranch_execz .LBB10_193
; %bb.192:                              ;   in Loop: Header=BB10_145 Depth=1
	global_load_dwordx2 v[20:21], v[22:23], off
	v_add_u32_e32 v26, -8, v5
.LBB10_193:                             ;   in Loop: Header=BB10_145 Depth=1
	s_or_b64 exec, exec, s[0:1]
	v_cmp_gt_u32_e32 vcc, 8, v26
	s_and_saveexec_b64 s[0:1], vcc
	s_xor_b64 s[0:1], exec, s[0:1]
	s_cbranch_execz .LBB10_199
; %bb.194:                              ;   in Loop: Header=BB10_145 Depth=1
	v_cmp_ne_u32_e32 vcc, 0, v26
	v_mov_b64_e32 v[22:23], 0
	s_and_saveexec_b64 s[10:11], vcc
	s_cbranch_execz .LBB10_198
; %bb.195:                              ;   in Loop: Header=BB10_145 Depth=1
	s_mov_b64 s[12:13], 0
	v_mov_b64_e32 v[22:23], 0
	s_mov_b64 s[14:15], 0
.LBB10_196:                             ;   Parent Loop BB10_145 Depth=1
                                        ; =>  This Inner Loop Header: Depth=2
	global_load_ubyte v5, v[24:25], off
	v_mov_b32_e32 v37, s18
	v_add_u32_e32 v26, -1, v26
	v_cmp_eq_u32_e32 vcc, 0, v26
	v_lshl_add_u64 v[24:25], v[24:25], 0, 1
	s_waitcnt vmcnt(0)
	v_and_b32_e32 v36, 0xffff, v5
	v_lshlrev_b64 v[36:37], s14, v[36:37]
	s_add_u32 s14, s14, 8
	s_addc_u32 s15, s15, 0
	v_or_b32_e32 v23, v37, v23
	s_or_b64 s[12:13], vcc, s[12:13]
	v_or_b32_e32 v22, v36, v22
	s_andn2_b64 exec, exec, s[12:13]
	s_cbranch_execnz .LBB10_196
; %bb.197:                              ;   in Loop: Header=BB10_145 Depth=1
	s_or_b64 exec, exec, s[12:13]
.LBB10_198:                             ;   in Loop: Header=BB10_145 Depth=1
	s_or_b64 exec, exec, s[10:11]
                                        ; implicit-def: $vgpr24_vgpr25
.LBB10_199:                             ;   in Loop: Header=BB10_145 Depth=1
	s_andn2_saveexec_b64 s[0:1], s[0:1]
	s_cbranch_execz .LBB10_201
; %bb.200:                              ;   in Loop: Header=BB10_145 Depth=1
	global_load_dwordx2 v[22:23], v[24:25], off
.LBB10_201:                             ;   in Loop: Header=BB10_145 Depth=1
	s_or_b64 exec, exec, s[0:1]
	v_readfirstlane_b32 s0, v48
	v_mov_b64_e32 v[36:37], 0
	s_nop 0
	v_cmp_eq_u32_e64 s[0:1], s0, v48
	s_and_saveexec_b64 s[10:11], s[0:1]
	s_cbranch_execz .LBB10_207
; %bb.202:                              ;   in Loop: Header=BB10_145 Depth=1
	global_load_dwordx2 v[26:27], v31, s[2:3] offset:24 sc0 sc1
	s_waitcnt vmcnt(0)
	buffer_inv sc0 sc1
	global_load_dwordx2 v[24:25], v31, s[2:3] offset:40
	global_load_dwordx2 v[36:37], v31, s[2:3]
	s_waitcnt vmcnt(1)
	v_and_b32_e32 v5, v24, v26
	v_and_b32_e32 v24, v25, v27
	v_mul_lo_u32 v24, v24, 24
	v_mul_hi_u32 v25, v5, 24
	v_add_u32_e32 v25, v25, v24
	v_mul_lo_u32 v24, v5, 24
	s_waitcnt vmcnt(0)
	v_lshl_add_u64 v[24:25], v[36:37], 0, v[24:25]
	global_load_dwordx2 v[24:25], v[24:25], off sc0 sc1
	s_waitcnt vmcnt(0)
	global_atomic_cmpswap_x2 v[36:37], v31, v[24:27], s[2:3] offset:24 sc0 sc1
	s_waitcnt vmcnt(0)
	buffer_inv sc0 sc1
	v_cmp_ne_u64_e32 vcc, v[36:37], v[26:27]
	s_and_saveexec_b64 s[12:13], vcc
	s_cbranch_execz .LBB10_206
; %bb.203:                              ;   in Loop: Header=BB10_145 Depth=1
	s_mov_b64 s[14:15], 0
.LBB10_204:                             ;   Parent Loop BB10_145 Depth=1
                                        ; =>  This Inner Loop Header: Depth=2
	s_sleep 1
	global_load_dwordx2 v[24:25], v31, s[2:3] offset:40
	global_load_dwordx2 v[38:39], v31, s[2:3]
	v_mov_b64_e32 v[26:27], v[36:37]
	s_waitcnt vmcnt(1)
	v_and_b32_e32 v24, v24, v26
	v_and_b32_e32 v5, v25, v27
	s_waitcnt vmcnt(0)
	v_mad_u64_u32 v[24:25], s[16:17], v24, 24, v[38:39]
	v_mov_b32_e32 v36, v25
	v_mad_u64_u32 v[36:37], s[16:17], v5, 24, v[36:37]
	v_mov_b32_e32 v25, v36
	global_load_dwordx2 v[24:25], v[24:25], off sc0 sc1
	s_waitcnt vmcnt(0)
	global_atomic_cmpswap_x2 v[36:37], v31, v[24:27], s[2:3] offset:24 sc0 sc1
	s_waitcnt vmcnt(0)
	buffer_inv sc0 sc1
	v_cmp_eq_u64_e32 vcc, v[36:37], v[26:27]
	s_or_b64 s[14:15], vcc, s[14:15]
	s_andn2_b64 exec, exec, s[14:15]
	s_cbranch_execnz .LBB10_204
; %bb.205:                              ;   in Loop: Header=BB10_145 Depth=1
	s_or_b64 exec, exec, s[14:15]
.LBB10_206:                             ;   in Loop: Header=BB10_145 Depth=1
	s_or_b64 exec, exec, s[12:13]
.LBB10_207:                             ;   in Loop: Header=BB10_145 Depth=1
	s_or_b64 exec, exec, s[10:11]
	global_load_dwordx2 v[38:39], v31, s[2:3] offset:40
	global_load_dwordx4 v[24:27], v31, s[2:3]
	v_readfirstlane_b32 s11, v37
	v_readfirstlane_b32 s10, v36
	s_mov_b64 s[12:13], exec
	s_waitcnt vmcnt(1)
	v_readfirstlane_b32 s14, v38
	v_readfirstlane_b32 s15, v39
	s_and_b64 s[14:15], s[14:15], s[10:11]
	s_mul_i32 s16, s15, 24
	s_mul_hi_u32 s17, s14, 24
	s_add_i32 s17, s17, s16
	s_mul_i32 s16, s14, 24
	s_waitcnt vmcnt(0)
	v_lshl_add_u64 v[36:37], v[24:25], 0, s[16:17]
	s_and_saveexec_b64 s[16:17], s[0:1]
	s_cbranch_execz .LBB10_209
; %bb.208:                              ;   in Loop: Header=BB10_145 Depth=1
	v_mov_b64_e32 v[50:51], s[12:13]
	global_store_dwordx4 v[36:37], v[50:53], off offset:8
.LBB10_209:                             ;   in Loop: Header=BB10_145 Depth=1
	s_or_b64 exec, exec, s[16:17]
	v_cmp_gt_u64_e32 vcc, 57, v[0:1]
	s_lshl_b64 s[12:13], s[14:15], 12
	v_and_b32_e32 v8, 0xffffff1f, v8
	v_cndmask_b32_e32 v5, 0, v28, vcc
	v_lshl_add_u64 v[26:27], v[26:27], 0, s[12:13]
	v_lshl_add_u32 v29, v34, 2, 28
	v_or_b32_e32 v5, v8, v5
	v_and_or_b32 v8, v29, s19, v5
	v_readfirstlane_b32 s12, v26
	v_readfirstlane_b32 s13, v27
	s_nop 4
	global_store_dwordx4 v30, v[8:11], s[12:13]
	global_store_dwordx4 v30, v[12:15], s[12:13] offset:16
	global_store_dwordx4 v30, v[16:19], s[12:13] offset:32
	;; [unrolled: 1-line block ×3, first 2 shown]
	s_and_saveexec_b64 s[12:13], s[0:1]
	s_cbranch_execz .LBB10_217
; %bb.210:                              ;   in Loop: Header=BB10_145 Depth=1
	global_load_dwordx2 v[16:17], v31, s[2:3] offset:32 sc0 sc1
	global_load_dwordx2 v[8:9], v31, s[2:3] offset:40
	v_mov_b32_e32 v14, s10
	v_mov_b32_e32 v15, s11
	s_waitcnt vmcnt(0)
	v_readfirstlane_b32 s14, v8
	v_readfirstlane_b32 s15, v9
	s_and_b64 s[14:15], s[14:15], s[10:11]
	s_mul_i32 s15, s15, 24
	s_mul_hi_u32 s16, s14, 24
	s_mul_i32 s14, s14, 24
	s_add_i32 s15, s16, s15
	v_lshl_add_u64 v[12:13], v[24:25], 0, s[14:15]
	global_store_dwordx2 v[12:13], v[16:17], off
	buffer_wbl2 sc0 sc1
	s_waitcnt vmcnt(0)
	global_atomic_cmpswap_x2 v[10:11], v31, v[14:17], s[2:3] offset:32 sc0 sc1
	s_waitcnt vmcnt(0)
	v_cmp_ne_u64_e32 vcc, v[10:11], v[16:17]
	s_and_saveexec_b64 s[14:15], vcc
	s_cbranch_execz .LBB10_213
; %bb.211:                              ;   in Loop: Header=BB10_145 Depth=1
	s_mov_b64 s[16:17], 0
.LBB10_212:                             ;   Parent Loop BB10_145 Depth=1
                                        ; =>  This Inner Loop Header: Depth=2
	s_sleep 1
	global_store_dwordx2 v[12:13], v[10:11], off
	v_mov_b32_e32 v8, s10
	v_mov_b32_e32 v9, s11
	buffer_wbl2 sc0 sc1
	s_waitcnt vmcnt(0)
	global_atomic_cmpswap_x2 v[8:9], v31, v[8:11], s[2:3] offset:32 sc0 sc1
	s_waitcnt vmcnt(0)
	v_cmp_eq_u64_e32 vcc, v[8:9], v[10:11]
	s_or_b64 s[16:17], vcc, s[16:17]
	v_mov_b64_e32 v[10:11], v[8:9]
	s_andn2_b64 exec, exec, s[16:17]
	s_cbranch_execnz .LBB10_212
.LBB10_213:                             ;   in Loop: Header=BB10_145 Depth=1
	s_or_b64 exec, exec, s[14:15]
	global_load_dwordx2 v[8:9], v31, s[2:3] offset:16
	s_mov_b64 s[16:17], exec
	v_mbcnt_lo_u32_b32 v5, s16, 0
	v_mbcnt_hi_u32_b32 v5, s17, v5
	v_cmp_eq_u32_e32 vcc, 0, v5
	s_and_saveexec_b64 s[14:15], vcc
	s_cbranch_execz .LBB10_215
; %bb.214:                              ;   in Loop: Header=BB10_145 Depth=1
	s_bcnt1_i32_b64 s16, s[16:17]
	v_mov_b32_e32 v10, s16
	v_mov_b32_e32 v11, v31
	buffer_wbl2 sc0 sc1
	s_waitcnt vmcnt(0)
	global_atomic_add_x2 v[8:9], v[10:11], off offset:8 sc1
.LBB10_215:                             ;   in Loop: Header=BB10_145 Depth=1
	s_or_b64 exec, exec, s[14:15]
	s_waitcnt vmcnt(0)
	global_load_dwordx2 v[10:11], v[8:9], off offset:16
	s_waitcnt vmcnt(0)
	v_cmp_eq_u64_e32 vcc, 0, v[10:11]
	s_cbranch_vccnz .LBB10_217
; %bb.216:                              ;   in Loop: Header=BB10_145 Depth=1
	global_load_dword v8, v[8:9], off offset:24
	v_mov_b32_e32 v9, v31
	s_waitcnt vmcnt(0)
	v_readfirstlane_b32 s14, v8
	s_and_b32 m0, s14, 0xffffff
	buffer_wbl2 sc0 sc1
	global_store_dwordx2 v[10:11], v[8:9], off sc0 sc1
	s_sendmsg sendmsg(MSG_INTERRUPT)
.LBB10_217:                             ;   in Loop: Header=BB10_145 Depth=1
	s_or_b64 exec, exec, s[12:13]
	v_lshl_add_u64 v[8:9], v[26:27], 0, v[30:31]
	s_branch .LBB10_221
.LBB10_218:                             ;   in Loop: Header=BB10_221 Depth=2
	s_or_b64 exec, exec, s[12:13]
	v_readfirstlane_b32 s12, v5
	s_cmp_eq_u32 s12, 0
	s_cbranch_scc1 .LBB10_220
; %bb.219:                              ;   in Loop: Header=BB10_221 Depth=2
	s_sleep 1
	s_cbranch_execnz .LBB10_221
	s_branch .LBB10_223
.LBB10_220:                             ;   in Loop: Header=BB10_145 Depth=1
	s_branch .LBB10_223
.LBB10_221:                             ;   Parent Loop BB10_145 Depth=1
                                        ; =>  This Inner Loop Header: Depth=2
	v_mov_b32_e32 v5, 1
	s_and_saveexec_b64 s[12:13], s[0:1]
	s_cbranch_execz .LBB10_218
; %bb.222:                              ;   in Loop: Header=BB10_221 Depth=2
	global_load_dword v5, v[36:37], off offset:20 sc0 sc1
	s_waitcnt vmcnt(0)
	buffer_inv sc0 sc1
	v_and_b32_e32 v5, 1, v5
	s_branch .LBB10_218
.LBB10_223:                             ;   in Loop: Header=BB10_145 Depth=1
	global_load_dwordx2 v[8:9], v[8:9], off
	s_and_saveexec_b64 s[12:13], s[0:1]
	s_cbranch_execz .LBB10_144
; %bb.224:                              ;   in Loop: Header=BB10_145 Depth=1
	global_load_dwordx2 v[10:11], v31, s[2:3] offset:40
	global_load_dwordx2 v[18:19], v31, s[2:3] offset:24 sc0 sc1
	global_load_dwordx2 v[12:13], v31, s[2:3]
	s_waitcnt vmcnt(2)
	v_readfirstlane_b32 s14, v10
	v_readfirstlane_b32 s15, v11
	s_add_u32 s16, s14, 1
	s_addc_u32 s17, s15, 0
	s_add_u32 s0, s16, s10
	s_addc_u32 s1, s17, s11
	s_cmp_eq_u64 s[0:1], 0
	s_cselect_b32 s1, s17, s1
	s_cselect_b32 s0, s16, s0
	s_and_b64 s[10:11], s[0:1], s[14:15]
	s_mul_i32 s11, s11, 24
	s_mul_hi_u32 s14, s10, 24
	s_mul_i32 s10, s10, 24
	s_add_i32 s11, s14, s11
	s_waitcnt vmcnt(0)
	v_lshl_add_u64 v[14:15], v[12:13], 0, s[10:11]
	v_mov_b32_e32 v16, s0
	global_store_dwordx2 v[14:15], v[18:19], off
	v_mov_b32_e32 v17, s1
	buffer_wbl2 sc0 sc1
	s_waitcnt vmcnt(0)
	global_atomic_cmpswap_x2 v[12:13], v31, v[16:19], s[2:3] offset:24 sc0 sc1
	s_waitcnt vmcnt(0)
	v_cmp_ne_u64_e32 vcc, v[12:13], v[18:19]
	s_and_b64 exec, exec, vcc
	s_cbranch_execz .LBB10_144
; %bb.225:                              ;   in Loop: Header=BB10_145 Depth=1
	s_mov_b64 s[10:11], 0
.LBB10_226:                             ;   Parent Loop BB10_145 Depth=1
                                        ; =>  This Inner Loop Header: Depth=2
	s_sleep 1
	global_store_dwordx2 v[14:15], v[12:13], off
	v_mov_b32_e32 v10, s0
	v_mov_b32_e32 v11, s1
	buffer_wbl2 sc0 sc1
	s_waitcnt vmcnt(0)
	global_atomic_cmpswap_x2 v[10:11], v31, v[10:13], s[2:3] offset:24 sc0 sc1
	s_waitcnt vmcnt(0)
	v_cmp_eq_u64_e32 vcc, v[10:11], v[12:13]
	s_or_b64 s[10:11], vcc, s[10:11]
	v_mov_b64_e32 v[12:13], v[10:11]
	s_andn2_b64 exec, exec, s[10:11]
	s_cbranch_execnz .LBB10_226
	s_branch .LBB10_144
.LBB10_227:
	s_or_b64 exec, exec, s[4:5]
.LBB10_228:
	s_andn2_saveexec_b64 s[4:5], s[6:7]
	s_cbranch_execz .LBB10_255
; %bb.229:
	v_readfirstlane_b32 s0, v48
	v_mov_b64_e32 v[10:11], 0
	s_nop 0
	v_cmp_eq_u32_e64 s[0:1], s0, v48
	s_and_saveexec_b64 s[6:7], s[0:1]
	s_cbranch_execz .LBB10_235
; %bb.230:
	v_mov_b32_e32 v0, 0
	global_load_dwordx2 v[12:13], v0, s[2:3] offset:24 sc0 sc1
	s_waitcnt vmcnt(0)
	buffer_inv sc0 sc1
	global_load_dwordx2 v[2:3], v0, s[2:3] offset:40
	global_load_dwordx2 v[10:11], v0, s[2:3]
	s_waitcnt vmcnt(1)
	v_and_b32_e32 v1, v2, v12
	v_and_b32_e32 v2, v3, v13
	v_mul_lo_u32 v2, v2, 24
	v_mul_hi_u32 v3, v1, 24
	v_add_u32_e32 v3, v3, v2
	v_mul_lo_u32 v2, v1, 24
	s_waitcnt vmcnt(0)
	v_lshl_add_u64 v[2:3], v[10:11], 0, v[2:3]
	global_load_dwordx2 v[10:11], v[2:3], off sc0 sc1
	s_waitcnt vmcnt(0)
	global_atomic_cmpswap_x2 v[10:11], v0, v[10:13], s[2:3] offset:24 sc0 sc1
	s_waitcnt vmcnt(0)
	buffer_inv sc0 sc1
	v_cmp_ne_u64_e32 vcc, v[10:11], v[12:13]
	s_and_saveexec_b64 s[10:11], vcc
	s_cbranch_execz .LBB10_234
; %bb.231:
	s_mov_b64 s[12:13], 0
.LBB10_232:                             ; =>This Inner Loop Header: Depth=1
	s_sleep 1
	global_load_dwordx2 v[2:3], v0, s[2:3] offset:40
	global_load_dwordx2 v[14:15], v0, s[2:3]
	v_mov_b64_e32 v[12:13], v[10:11]
	s_waitcnt vmcnt(1)
	v_and_b32_e32 v2, v2, v12
	v_and_b32_e32 v1, v3, v13
	s_waitcnt vmcnt(0)
	v_mad_u64_u32 v[2:3], s[14:15], v2, 24, v[14:15]
	v_mov_b32_e32 v10, v3
	v_mad_u64_u32 v[10:11], s[14:15], v1, 24, v[10:11]
	v_mov_b32_e32 v3, v10
	global_load_dwordx2 v[10:11], v[2:3], off sc0 sc1
	s_waitcnt vmcnt(0)
	global_atomic_cmpswap_x2 v[10:11], v0, v[10:13], s[2:3] offset:24 sc0 sc1
	s_waitcnt vmcnt(0)
	buffer_inv sc0 sc1
	v_cmp_eq_u64_e32 vcc, v[10:11], v[12:13]
	s_or_b64 s[12:13], vcc, s[12:13]
	s_andn2_b64 exec, exec, s[12:13]
	s_cbranch_execnz .LBB10_232
; %bb.233:
	s_or_b64 exec, exec, s[12:13]
.LBB10_234:
	s_or_b64 exec, exec, s[10:11]
.LBB10_235:
	s_or_b64 exec, exec, s[6:7]
	v_mov_b32_e32 v31, 0
	global_load_dwordx2 v[12:13], v31, s[2:3] offset:40
	global_load_dwordx4 v[0:3], v31, s[2:3]
	v_readfirstlane_b32 s7, v11
	v_readfirstlane_b32 s6, v10
	s_mov_b64 s[10:11], exec
	s_waitcnt vmcnt(1)
	v_readfirstlane_b32 s12, v12
	v_readfirstlane_b32 s13, v13
	s_and_b64 s[12:13], s[12:13], s[6:7]
	s_mul_i32 s14, s13, 24
	s_mul_hi_u32 s15, s12, 24
	s_add_i32 s15, s15, s14
	s_mul_i32 s14, s12, 24
	s_waitcnt vmcnt(0)
	v_lshl_add_u64 v[12:13], v[0:1], 0, s[14:15]
	s_and_saveexec_b64 s[14:15], s[0:1]
	s_cbranch_execz .LBB10_237
; %bb.236:
	v_mov_b64_e32 v[14:15], s[10:11]
	v_mov_b32_e32 v16, 2
	v_mov_b32_e32 v17, 1
	global_store_dwordx4 v[12:13], v[14:17], off offset:8
.LBB10_237:
	s_or_b64 exec, exec, s[14:15]
	s_lshl_b64 s[10:11], s[12:13], 12
	v_lshl_add_u64 v[14:15], v[2:3], 0, s[10:11]
	s_movk_i32 s10, 0xff1f
	s_mov_b32 s12, 0
	v_and_or_b32 v8, v8, s10, 32
	v_mov_b32_e32 v10, v31
	v_mov_b32_e32 v11, v31
	v_readfirstlane_b32 s10, v14
	v_readfirstlane_b32 s11, v15
	s_mov_b32 s13, s12
	s_mov_b32 s14, s12
	;; [unrolled: 1-line block ×3, first 2 shown]
	s_nop 1
	global_store_dwordx4 v30, v[8:11], s[10:11]
	s_nop 1
	v_mov_b64_e32 v[8:9], s[12:13]
	v_mov_b64_e32 v[10:11], s[14:15]
	global_store_dwordx4 v30, v[8:11], s[10:11] offset:16
	global_store_dwordx4 v30, v[8:11], s[10:11] offset:32
	;; [unrolled: 1-line block ×3, first 2 shown]
	s_and_saveexec_b64 s[10:11], s[0:1]
	s_cbranch_execz .LBB10_245
; %bb.238:
	v_mov_b32_e32 v5, 0
	global_load_dwordx2 v[18:19], v5, s[2:3] offset:32 sc0 sc1
	global_load_dwordx2 v[2:3], v5, s[2:3] offset:40
	v_mov_b32_e32 v16, s6
	v_mov_b32_e32 v17, s7
	s_waitcnt vmcnt(0)
	v_readfirstlane_b32 s12, v2
	v_readfirstlane_b32 s13, v3
	s_and_b64 s[12:13], s[12:13], s[6:7]
	s_mul_i32 s13, s13, 24
	s_mul_hi_u32 s14, s12, 24
	s_mul_i32 s12, s12, 24
	s_add_i32 s13, s14, s13
	v_lshl_add_u64 v[8:9], v[0:1], 0, s[12:13]
	global_store_dwordx2 v[8:9], v[18:19], off
	buffer_wbl2 sc0 sc1
	s_waitcnt vmcnt(0)
	global_atomic_cmpswap_x2 v[2:3], v5, v[16:19], s[2:3] offset:32 sc0 sc1
	s_waitcnt vmcnt(0)
	v_cmp_ne_u64_e32 vcc, v[2:3], v[18:19]
	s_and_saveexec_b64 s[12:13], vcc
	s_cbranch_execz .LBB10_241
; %bb.239:
	s_mov_b64 s[14:15], 0
.LBB10_240:                             ; =>This Inner Loop Header: Depth=1
	s_sleep 1
	global_store_dwordx2 v[8:9], v[2:3], off
	v_mov_b32_e32 v0, s6
	v_mov_b32_e32 v1, s7
	buffer_wbl2 sc0 sc1
	s_waitcnt vmcnt(0)
	global_atomic_cmpswap_x2 v[0:1], v5, v[0:3], s[2:3] offset:32 sc0 sc1
	s_waitcnt vmcnt(0)
	v_cmp_eq_u64_e32 vcc, v[0:1], v[2:3]
	s_or_b64 s[14:15], vcc, s[14:15]
	v_mov_b64_e32 v[2:3], v[0:1]
	s_andn2_b64 exec, exec, s[14:15]
	s_cbranch_execnz .LBB10_240
.LBB10_241:
	s_or_b64 exec, exec, s[12:13]
	v_mov_b32_e32 v3, 0
	global_load_dwordx2 v[0:1], v3, s[2:3] offset:16
	s_mov_b64 s[12:13], exec
	v_mbcnt_lo_u32_b32 v2, s12, 0
	v_mbcnt_hi_u32_b32 v2, s13, v2
	v_cmp_eq_u32_e32 vcc, 0, v2
	s_and_saveexec_b64 s[14:15], vcc
	s_cbranch_execz .LBB10_243
; %bb.242:
	s_bcnt1_i32_b64 s12, s[12:13]
	v_mov_b32_e32 v2, s12
	buffer_wbl2 sc0 sc1
	s_waitcnt vmcnt(0)
	global_atomic_add_x2 v[0:1], v[2:3], off offset:8 sc1
.LBB10_243:
	s_or_b64 exec, exec, s[14:15]
	s_waitcnt vmcnt(0)
	global_load_dwordx2 v[2:3], v[0:1], off offset:16
	s_waitcnt vmcnt(0)
	v_cmp_eq_u64_e32 vcc, 0, v[2:3]
	s_cbranch_vccnz .LBB10_245
; %bb.244:
	global_load_dword v0, v[0:1], off offset:24
	v_mov_b32_e32 v1, 0
	s_waitcnt vmcnt(0)
	v_readfirstlane_b32 s12, v0
	s_and_b32 m0, s12, 0xffffff
	buffer_wbl2 sc0 sc1
	global_store_dwordx2 v[2:3], v[0:1], off sc0 sc1
	s_sendmsg sendmsg(MSG_INTERRUPT)
.LBB10_245:
	s_or_b64 exec, exec, s[10:11]
	v_lshl_add_u64 v[0:1], v[14:15], 0, v[30:31]
	s_branch .LBB10_249
.LBB10_246:                             ;   in Loop: Header=BB10_249 Depth=1
	s_or_b64 exec, exec, s[10:11]
	v_readfirstlane_b32 s10, v2
	s_cmp_eq_u32 s10, 0
	s_cbranch_scc1 .LBB10_248
; %bb.247:                              ;   in Loop: Header=BB10_249 Depth=1
	s_sleep 1
	s_cbranch_execnz .LBB10_249
	s_branch .LBB10_251
.LBB10_248:
	s_branch .LBB10_251
.LBB10_249:                             ; =>This Inner Loop Header: Depth=1
	v_mov_b32_e32 v2, 1
	s_and_saveexec_b64 s[10:11], s[0:1]
	s_cbranch_execz .LBB10_246
; %bb.250:                              ;   in Loop: Header=BB10_249 Depth=1
	global_load_dword v2, v[12:13], off offset:20 sc0 sc1
	s_waitcnt vmcnt(0)
	buffer_inv sc0 sc1
	v_and_b32_e32 v2, 1, v2
	s_branch .LBB10_246
.LBB10_251:
	global_load_dwordx2 v[8:9], v[0:1], off
	s_and_saveexec_b64 s[10:11], s[0:1]
	s_cbranch_execz .LBB10_254
; %bb.252:
	v_mov_b32_e32 v5, 0
	global_load_dwordx2 v[0:1], v5, s[2:3] offset:40
	global_load_dwordx2 v[14:15], v5, s[2:3] offset:24 sc0 sc1
	global_load_dwordx2 v[2:3], v5, s[2:3]
	s_waitcnt vmcnt(2)
	v_readfirstlane_b32 s12, v0
	v_readfirstlane_b32 s13, v1
	s_add_u32 s14, s12, 1
	s_addc_u32 s15, s13, 0
	s_add_u32 s0, s14, s6
	s_addc_u32 s1, s15, s7
	s_cmp_eq_u64 s[0:1], 0
	s_cselect_b32 s1, s15, s1
	s_cselect_b32 s0, s14, s0
	s_and_b64 s[6:7], s[0:1], s[12:13]
	s_mul_i32 s7, s7, 24
	s_mul_hi_u32 s12, s6, 24
	s_mul_i32 s6, s6, 24
	s_add_i32 s7, s12, s7
	s_waitcnt vmcnt(0)
	v_lshl_add_u64 v[10:11], v[2:3], 0, s[6:7]
	v_mov_b32_e32 v12, s0
	global_store_dwordx2 v[10:11], v[14:15], off
	v_mov_b32_e32 v13, s1
	buffer_wbl2 sc0 sc1
	s_waitcnt vmcnt(0)
	global_atomic_cmpswap_x2 v[2:3], v5, v[12:15], s[2:3] offset:24 sc0 sc1
	s_mov_b64 s[6:7], 0
	s_waitcnt vmcnt(0)
	v_cmp_ne_u64_e32 vcc, v[2:3], v[14:15]
	s_and_b64 exec, exec, vcc
	s_cbranch_execz .LBB10_254
.LBB10_253:                             ; =>This Inner Loop Header: Depth=1
	s_sleep 1
	global_store_dwordx2 v[10:11], v[2:3], off
	v_mov_b32_e32 v0, s0
	v_mov_b32_e32 v1, s1
	buffer_wbl2 sc0 sc1
	s_waitcnt vmcnt(0)
	global_atomic_cmpswap_x2 v[0:1], v5, v[0:3], s[2:3] offset:24 sc0 sc1
	s_waitcnt vmcnt(0)
	v_cmp_eq_u64_e32 vcc, v[0:1], v[2:3]
	s_or_b64 s[6:7], vcc, s[6:7]
	v_mov_b64_e32 v[2:3], v[0:1]
	s_andn2_b64 exec, exec, s[6:7]
	s_cbranch_execnz .LBB10_253
.LBB10_254:
	s_or_b64 exec, exec, s[10:11]
.LBB10_255:
	s_or_b64 exec, exec, s[4:5]
	v_readfirstlane_b32 s0, v48
	v_mov_b64_e32 v[10:11], 0
	s_nop 0
	v_cmp_eq_u32_e64 s[0:1], s0, v48
	s_and_saveexec_b64 s[4:5], s[0:1]
	s_cbranch_execz .LBB10_261
; %bb.256:
	v_mov_b32_e32 v0, 0
	global_load_dwordx2 v[12:13], v0, s[2:3] offset:24 sc0 sc1
	s_waitcnt vmcnt(0)
	buffer_inv sc0 sc1
	global_load_dwordx2 v[2:3], v0, s[2:3] offset:40
	global_load_dwordx2 v[10:11], v0, s[2:3]
	s_waitcnt vmcnt(1)
	v_and_b32_e32 v1, v2, v12
	v_and_b32_e32 v2, v3, v13
	v_mul_lo_u32 v2, v2, 24
	v_mul_hi_u32 v3, v1, 24
	v_add_u32_e32 v3, v3, v2
	v_mul_lo_u32 v2, v1, 24
	s_waitcnt vmcnt(0)
	v_lshl_add_u64 v[2:3], v[10:11], 0, v[2:3]
	global_load_dwordx2 v[10:11], v[2:3], off sc0 sc1
	s_waitcnt vmcnt(0)
	global_atomic_cmpswap_x2 v[10:11], v0, v[10:13], s[2:3] offset:24 sc0 sc1
	s_waitcnt vmcnt(0)
	buffer_inv sc0 sc1
	v_cmp_ne_u64_e32 vcc, v[10:11], v[12:13]
	s_and_saveexec_b64 s[6:7], vcc
	s_cbranch_execz .LBB10_260
; %bb.257:
	s_mov_b64 s[10:11], 0
.LBB10_258:                             ; =>This Inner Loop Header: Depth=1
	s_sleep 1
	global_load_dwordx2 v[2:3], v0, s[2:3] offset:40
	global_load_dwordx2 v[14:15], v0, s[2:3]
	v_mov_b64_e32 v[12:13], v[10:11]
	s_waitcnt vmcnt(1)
	v_and_b32_e32 v2, v2, v12
	v_and_b32_e32 v1, v3, v13
	s_waitcnt vmcnt(0)
	v_mad_u64_u32 v[2:3], s[12:13], v2, 24, v[14:15]
	v_mov_b32_e32 v10, v3
	v_mad_u64_u32 v[10:11], s[12:13], v1, 24, v[10:11]
	v_mov_b32_e32 v3, v10
	global_load_dwordx2 v[10:11], v[2:3], off sc0 sc1
	s_waitcnt vmcnt(0)
	global_atomic_cmpswap_x2 v[10:11], v0, v[10:13], s[2:3] offset:24 sc0 sc1
	s_waitcnt vmcnt(0)
	buffer_inv sc0 sc1
	v_cmp_eq_u64_e32 vcc, v[10:11], v[12:13]
	s_or_b64 s[10:11], vcc, s[10:11]
	s_andn2_b64 exec, exec, s[10:11]
	s_cbranch_execnz .LBB10_258
; %bb.259:
	s_or_b64 exec, exec, s[10:11]
.LBB10_260:
	s_or_b64 exec, exec, s[6:7]
.LBB10_261:
	s_or_b64 exec, exec, s[4:5]
	v_mov_b32_e32 v31, 0
	global_load_dwordx2 v[12:13], v31, s[2:3] offset:40
	global_load_dwordx4 v[0:3], v31, s[2:3]
	v_readfirstlane_b32 s5, v11
	v_readfirstlane_b32 s4, v10
	s_mov_b64 s[6:7], exec
	s_waitcnt vmcnt(1)
	v_readfirstlane_b32 s10, v12
	v_readfirstlane_b32 s11, v13
	s_and_b64 s[10:11], s[10:11], s[4:5]
	s_mul_i32 s12, s11, 24
	s_mul_hi_u32 s13, s10, 24
	s_add_i32 s13, s13, s12
	s_mul_i32 s12, s10, 24
	s_waitcnt vmcnt(0)
	v_lshl_add_u64 v[12:13], v[0:1], 0, s[12:13]
	s_and_saveexec_b64 s[12:13], s[0:1]
	s_cbranch_execz .LBB10_263
; %bb.262:
	v_mov_b64_e32 v[14:15], s[6:7]
	v_mov_b32_e32 v16, 2
	v_mov_b32_e32 v17, 1
	global_store_dwordx4 v[12:13], v[14:17], off offset:8
.LBB10_263:
	s_or_b64 exec, exec, s[12:13]
	s_mov_b32 s12, 0
	s_lshl_b64 s[6:7], s[10:11], 12
	s_mov_b32 s13, s12
	v_lshl_add_u64 v[14:15], v[2:3], 0, s[6:7]
	s_movk_i32 s6, 0xff1f
	v_mov_b32_e32 v10, v4
	s_mov_b32 s14, s12
	s_mov_b32 s15, s12
	v_mov_b64_e32 v[2:3], s[12:13]
	v_and_or_b32 v8, v8, s6, 32
	v_mov_b32_e32 v11, v31
	v_readfirstlane_b32 s6, v14
	v_readfirstlane_b32 s7, v15
	v_mov_b64_e32 v[4:5], s[14:15]
	s_nop 3
	global_store_dwordx4 v30, v[8:11], s[6:7]
	global_store_dwordx4 v30, v[2:5], s[6:7] offset:16
	global_store_dwordx4 v30, v[2:5], s[6:7] offset:32
	;; [unrolled: 1-line block ×3, first 2 shown]
	s_and_saveexec_b64 s[6:7], s[0:1]
	s_cbranch_execz .LBB10_271
; %bb.264:
	v_mov_b32_e32 v8, 0
	global_load_dwordx2 v[18:19], v8, s[2:3] offset:32 sc0 sc1
	global_load_dwordx2 v[2:3], v8, s[2:3] offset:40
	v_mov_b32_e32 v16, s4
	v_mov_b32_e32 v17, s5
	s_waitcnt vmcnt(0)
	v_readfirstlane_b32 s10, v2
	v_readfirstlane_b32 s11, v3
	s_and_b64 s[10:11], s[10:11], s[4:5]
	s_mul_i32 s11, s11, 24
	s_mul_hi_u32 s12, s10, 24
	s_mul_i32 s10, s10, 24
	s_add_i32 s11, s12, s11
	v_lshl_add_u64 v[4:5], v[0:1], 0, s[10:11]
	global_store_dwordx2 v[4:5], v[18:19], off
	buffer_wbl2 sc0 sc1
	s_waitcnt vmcnt(0)
	global_atomic_cmpswap_x2 v[2:3], v8, v[16:19], s[2:3] offset:32 sc0 sc1
	s_waitcnt vmcnt(0)
	v_cmp_ne_u64_e32 vcc, v[2:3], v[18:19]
	s_and_saveexec_b64 s[10:11], vcc
	s_cbranch_execz .LBB10_267
; %bb.265:
	s_mov_b64 s[12:13], 0
.LBB10_266:                             ; =>This Inner Loop Header: Depth=1
	s_sleep 1
	global_store_dwordx2 v[4:5], v[2:3], off
	v_mov_b32_e32 v0, s4
	v_mov_b32_e32 v1, s5
	buffer_wbl2 sc0 sc1
	s_waitcnt vmcnt(0)
	global_atomic_cmpswap_x2 v[0:1], v8, v[0:3], s[2:3] offset:32 sc0 sc1
	s_waitcnt vmcnt(0)
	v_cmp_eq_u64_e32 vcc, v[0:1], v[2:3]
	s_or_b64 s[12:13], vcc, s[12:13]
	v_mov_b64_e32 v[2:3], v[0:1]
	s_andn2_b64 exec, exec, s[12:13]
	s_cbranch_execnz .LBB10_266
.LBB10_267:
	s_or_b64 exec, exec, s[10:11]
	v_mov_b32_e32 v3, 0
	global_load_dwordx2 v[0:1], v3, s[2:3] offset:16
	s_mov_b64 s[10:11], exec
	v_mbcnt_lo_u32_b32 v2, s10, 0
	v_mbcnt_hi_u32_b32 v2, s11, v2
	v_cmp_eq_u32_e32 vcc, 0, v2
	s_and_saveexec_b64 s[12:13], vcc
	s_cbranch_execz .LBB10_269
; %bb.268:
	s_bcnt1_i32_b64 s10, s[10:11]
	v_mov_b32_e32 v2, s10
	buffer_wbl2 sc0 sc1
	s_waitcnt vmcnt(0)
	global_atomic_add_x2 v[0:1], v[2:3], off offset:8 sc1
.LBB10_269:
	s_or_b64 exec, exec, s[12:13]
	s_waitcnt vmcnt(0)
	global_load_dwordx2 v[2:3], v[0:1], off offset:16
	s_waitcnt vmcnt(0)
	v_cmp_eq_u64_e32 vcc, 0, v[2:3]
	s_cbranch_vccnz .LBB10_271
; %bb.270:
	global_load_dword v0, v[0:1], off offset:24
	v_mov_b32_e32 v1, 0
	s_waitcnt vmcnt(0)
	v_readfirstlane_b32 s10, v0
	s_and_b32 m0, s10, 0xffffff
	buffer_wbl2 sc0 sc1
	global_store_dwordx2 v[2:3], v[0:1], off sc0 sc1
	s_sendmsg sendmsg(MSG_INTERRUPT)
.LBB10_271:
	s_or_b64 exec, exec, s[6:7]
	v_lshl_add_u64 v[0:1], v[14:15], 0, v[30:31]
	s_branch .LBB10_275
.LBB10_272:                             ;   in Loop: Header=BB10_275 Depth=1
	s_or_b64 exec, exec, s[6:7]
	v_readfirstlane_b32 s6, v2
	s_cmp_eq_u32 s6, 0
	s_cbranch_scc1 .LBB10_274
; %bb.273:                              ;   in Loop: Header=BB10_275 Depth=1
	s_sleep 1
	s_cbranch_execnz .LBB10_275
	s_branch .LBB10_277
.LBB10_274:
	s_branch .LBB10_277
.LBB10_275:                             ; =>This Inner Loop Header: Depth=1
	v_mov_b32_e32 v2, 1
	s_and_saveexec_b64 s[6:7], s[0:1]
	s_cbranch_execz .LBB10_272
; %bb.276:                              ;   in Loop: Header=BB10_275 Depth=1
	global_load_dword v2, v[12:13], off offset:20 sc0 sc1
	s_waitcnt vmcnt(0)
	buffer_inv sc0 sc1
	v_and_b32_e32 v2, 1, v2
	s_branch .LBB10_272
.LBB10_277:
	global_load_dwordx2 v[0:1], v[0:1], off
	s_and_saveexec_b64 s[6:7], s[0:1]
	s_cbranch_execz .LBB10_280
; %bb.278:
	v_mov_b32_e32 v10, 0
	global_load_dwordx2 v[2:3], v10, s[2:3] offset:40
	global_load_dwordx2 v[14:15], v10, s[2:3] offset:24 sc0 sc1
	global_load_dwordx2 v[4:5], v10, s[2:3]
	s_waitcnt vmcnt(2)
	v_readfirstlane_b32 s10, v2
	v_readfirstlane_b32 s11, v3
	s_add_u32 s12, s10, 1
	s_addc_u32 s13, s11, 0
	s_add_u32 s0, s12, s4
	s_addc_u32 s1, s13, s5
	s_cmp_eq_u64 s[0:1], 0
	s_cselect_b32 s1, s13, s1
	s_cselect_b32 s0, s12, s0
	s_and_b64 s[4:5], s[0:1], s[10:11]
	s_mul_i32 s5, s5, 24
	s_mul_hi_u32 s10, s4, 24
	s_mul_i32 s4, s4, 24
	s_add_i32 s5, s10, s5
	s_waitcnt vmcnt(0)
	v_lshl_add_u64 v[8:9], v[4:5], 0, s[4:5]
	v_mov_b32_e32 v12, s0
	global_store_dwordx2 v[8:9], v[14:15], off
	v_mov_b32_e32 v13, s1
	buffer_wbl2 sc0 sc1
	s_waitcnt vmcnt(0)
	global_atomic_cmpswap_x2 v[4:5], v10, v[12:15], s[2:3] offset:24 sc0 sc1
	s_mov_b64 s[4:5], 0
	s_waitcnt vmcnt(0)
	v_cmp_ne_u64_e32 vcc, v[4:5], v[14:15]
	s_and_b64 exec, exec, vcc
	s_cbranch_execz .LBB10_280
.LBB10_279:                             ; =>This Inner Loop Header: Depth=1
	s_sleep 1
	global_store_dwordx2 v[8:9], v[4:5], off
	v_mov_b32_e32 v2, s0
	v_mov_b32_e32 v3, s1
	buffer_wbl2 sc0 sc1
	s_waitcnt vmcnt(0)
	global_atomic_cmpswap_x2 v[2:3], v10, v[2:5], s[2:3] offset:24 sc0 sc1
	s_waitcnt vmcnt(0)
	v_cmp_eq_u64_e32 vcc, v[2:3], v[4:5]
	s_or_b64 s[4:5], vcc, s[4:5]
	v_mov_b64_e32 v[4:5], v[2:3]
	s_andn2_b64 exec, exec, s[4:5]
	s_cbranch_execnz .LBB10_279
.LBB10_280:
	s_or_b64 exec, exec, s[6:7]
	s_mov_b64 s[0:1], 0
	v_mov_b64_e32 v[2:3], v[32:33]
.LBB10_281:                             ; =>This Inner Loop Header: Depth=1
	global_load_ubyte v4, v[2:3], off
	v_lshl_add_u64 v[2:3], v[2:3], 0, 1
	s_waitcnt vmcnt(0)
	v_cmp_eq_u16_e32 vcc, 0, v4
	s_or_b64 s[0:1], vcc, s[0:1]
	s_andn2_b64 exec, exec, s[0:1]
	s_cbranch_execnz .LBB10_281
; %bb.282:
	s_or_b64 exec, exec, s[0:1]
	s_mov_b64 s[4:5], 0
	v_cmp_ne_u64_e32 vcc, 0, v[32:33]
	s_and_saveexec_b64 s[0:1], vcc
	s_xor_b64 s[6:7], exec, s[0:1]
	s_cbranch_execz .LBB10_368
; %bb.283:
	v_sub_u32_e32 v24, v2, v32
	v_ashrrev_i32_e32 v25, 31, v24
	v_and_b32_e32 v26, 2, v0
	v_mov_b32_e32 v31, 0
	v_and_b32_e32 v0, -3, v0
	s_mov_b32 s18, 0
	s_movk_i32 s19, 0x1e0
	v_mov_b32_e32 v36, 2
	v_mov_b32_e32 v37, 1
	s_branch .LBB10_285
.LBB10_284:                             ;   in Loop: Header=BB10_285 Depth=1
	s_or_b64 exec, exec, s[12:13]
	v_sub_co_u32_e32 v24, vcc, v24, v28
	v_lshl_add_u64 v[32:33], v[32:33], 0, v[28:29]
	s_nop 0
	v_subb_co_u32_e32 v25, vcc, v25, v29, vcc
	v_cmp_eq_u64_e32 vcc, 0, v[24:25]
	s_or_b64 s[4:5], vcc, s[4:5]
	s_andn2_b64 exec, exec, s[4:5]
	s_cbranch_execz .LBB10_367
.LBB10_285:                             ; =>This Loop Header: Depth=1
                                        ;     Child Loop BB10_288 Depth 2
                                        ;     Child Loop BB10_296 Depth 2
	;; [unrolled: 1-line block ×11, first 2 shown]
	v_cmp_gt_u64_e32 vcc, 56, v[24:25]
	v_lshl_add_u64 v[10:11], v[32:33], 0, 8
	s_nop 0
	v_cndmask_b32_e32 v29, 0, v25, vcc
	v_cndmask_b32_e32 v28, 56, v24, vcc
	v_cmp_gt_u64_e32 vcc, 8, v[24:25]
	s_and_saveexec_b64 s[0:1], vcc
	s_xor_b64 s[0:1], exec, s[0:1]
	s_cbranch_execz .LBB10_291
; %bb.286:                              ;   in Loop: Header=BB10_285 Depth=1
	v_mov_b64_e32 v[2:3], 0
	v_cmp_ne_u64_e32 vcc, 0, v[24:25]
	s_and_saveexec_b64 s[10:11], vcc
	s_cbranch_execz .LBB10_290
; %bb.287:                              ;   in Loop: Header=BB10_285 Depth=1
	v_lshlrev_b64 v[4:5], 3, v[28:29]
	s_mov_b64 s[12:13], 0
	v_mov_b64_e32 v[2:3], 0
	v_mov_b64_e32 v[8:9], v[32:33]
	s_mov_b64 s[14:15], 0
.LBB10_288:                             ;   Parent Loop BB10_285 Depth=1
                                        ; =>  This Inner Loop Header: Depth=2
	global_load_ubyte v5, v[8:9], off
	v_mov_b32_e32 v11, s18
	v_lshl_add_u64 v[8:9], v[8:9], 0, 1
	s_waitcnt vmcnt(0)
	v_and_b32_e32 v10, 0xffff, v5
	v_lshlrev_b64 v[10:11], s14, v[10:11]
	s_add_u32 s14, s14, 8
	s_addc_u32 s15, s15, 0
	v_cmp_eq_u32_e32 vcc, s14, v4
	v_or_b32_e32 v3, v11, v3
	s_or_b64 s[12:13], vcc, s[12:13]
	v_or_b32_e32 v2, v10, v2
	s_andn2_b64 exec, exec, s[12:13]
	s_cbranch_execnz .LBB10_288
; %bb.289:                              ;   in Loop: Header=BB10_285 Depth=1
	s_or_b64 exec, exec, s[12:13]
.LBB10_290:                             ;   in Loop: Header=BB10_285 Depth=1
	s_or_b64 exec, exec, s[10:11]
	v_mov_b64_e32 v[10:11], v[32:33]
.LBB10_291:                             ;   in Loop: Header=BB10_285 Depth=1
	s_or_saveexec_b64 s[0:1], s[0:1]
	v_mov_b32_e32 v12, 0
	s_xor_b64 exec, exec, s[0:1]
	s_cbranch_execz .LBB10_293
; %bb.292:                              ;   in Loop: Header=BB10_285 Depth=1
	global_load_dwordx2 v[2:3], v[32:33], off
	v_add_u32_e32 v12, -8, v28
.LBB10_293:                             ;   in Loop: Header=BB10_285 Depth=1
	s_or_b64 exec, exec, s[0:1]
	v_cmp_gt_u32_e32 vcc, 8, v12
	v_lshl_add_u64 v[4:5], v[10:11], 0, 8
                                        ; implicit-def: $vgpr8_vgpr9
	s_and_saveexec_b64 s[0:1], vcc
	s_xor_b64 s[0:1], exec, s[0:1]
	s_cbranch_execz .LBB10_299
; %bb.294:                              ;   in Loop: Header=BB10_285 Depth=1
	v_cmp_ne_u32_e32 vcc, 0, v12
	v_mov_b64_e32 v[8:9], 0
	s_and_saveexec_b64 s[10:11], vcc
	s_cbranch_execz .LBB10_298
; %bb.295:                              ;   in Loop: Header=BB10_285 Depth=1
	s_mov_b64 s[12:13], 0
	v_mov_b64_e32 v[8:9], 0
	s_mov_b64 s[14:15], 0
	s_mov_b64 s[16:17], 0
.LBB10_296:                             ;   Parent Loop BB10_285 Depth=1
                                        ; =>  This Inner Loop Header: Depth=2
	v_lshl_add_u64 v[4:5], v[10:11], 0, s[16:17]
	global_load_ubyte v4, v[4:5], off
	s_add_u32 s16, s16, 1
	v_mov_b32_e32 v5, s18
	s_addc_u32 s17, s17, 0
	v_cmp_eq_u32_e32 vcc, s16, v12
	s_waitcnt vmcnt(0)
	v_and_b32_e32 v4, 0xffff, v4
	v_lshlrev_b64 v[4:5], s14, v[4:5]
	s_add_u32 s14, s14, 8
	s_addc_u32 s15, s15, 0
	v_or_b32_e32 v9, v5, v9
	s_or_b64 s[12:13], vcc, s[12:13]
	v_or_b32_e32 v8, v4, v8
	s_andn2_b64 exec, exec, s[12:13]
	s_cbranch_execnz .LBB10_296
; %bb.297:                              ;   in Loop: Header=BB10_285 Depth=1
	s_or_b64 exec, exec, s[12:13]
.LBB10_298:                             ;   in Loop: Header=BB10_285 Depth=1
	s_or_b64 exec, exec, s[10:11]
	v_mov_b64_e32 v[4:5], v[10:11]
                                        ; implicit-def: $vgpr12
.LBB10_299:                             ;   in Loop: Header=BB10_285 Depth=1
	s_or_saveexec_b64 s[0:1], s[0:1]
	v_mov_b32_e32 v13, 0
	s_xor_b64 exec, exec, s[0:1]
	s_cbranch_execz .LBB10_301
; %bb.300:                              ;   in Loop: Header=BB10_285 Depth=1
	global_load_dwordx2 v[8:9], v[10:11], off
	v_add_u32_e32 v13, -8, v12
.LBB10_301:                             ;   in Loop: Header=BB10_285 Depth=1
	s_or_b64 exec, exec, s[0:1]
	v_cmp_gt_u32_e32 vcc, 8, v13
	v_lshl_add_u64 v[14:15], v[4:5], 0, 8
	s_and_saveexec_b64 s[0:1], vcc
	s_xor_b64 s[0:1], exec, s[0:1]
	s_cbranch_execz .LBB10_307
; %bb.302:                              ;   in Loop: Header=BB10_285 Depth=1
	v_cmp_ne_u32_e32 vcc, 0, v13
	v_mov_b64_e32 v[10:11], 0
	s_and_saveexec_b64 s[10:11], vcc
	s_cbranch_execz .LBB10_306
; %bb.303:                              ;   in Loop: Header=BB10_285 Depth=1
	s_mov_b64 s[12:13], 0
	v_mov_b64_e32 v[10:11], 0
	s_mov_b64 s[14:15], 0
	s_mov_b64 s[16:17], 0
.LBB10_304:                             ;   Parent Loop BB10_285 Depth=1
                                        ; =>  This Inner Loop Header: Depth=2
	v_lshl_add_u64 v[14:15], v[4:5], 0, s[16:17]
	global_load_ubyte v12, v[14:15], off
	s_add_u32 s16, s16, 1
	v_mov_b32_e32 v15, s18
	s_addc_u32 s17, s17, 0
	v_cmp_eq_u32_e32 vcc, s16, v13
	s_waitcnt vmcnt(0)
	v_and_b32_e32 v14, 0xffff, v12
	v_lshlrev_b64 v[14:15], s14, v[14:15]
	s_add_u32 s14, s14, 8
	s_addc_u32 s15, s15, 0
	v_or_b32_e32 v11, v15, v11
	s_or_b64 s[12:13], vcc, s[12:13]
	v_or_b32_e32 v10, v14, v10
	s_andn2_b64 exec, exec, s[12:13]
	s_cbranch_execnz .LBB10_304
; %bb.305:                              ;   in Loop: Header=BB10_285 Depth=1
	s_or_b64 exec, exec, s[12:13]
.LBB10_306:                             ;   in Loop: Header=BB10_285 Depth=1
	s_or_b64 exec, exec, s[10:11]
	v_mov_b64_e32 v[14:15], v[4:5]
                                        ; implicit-def: $vgpr13
.LBB10_307:                             ;   in Loop: Header=BB10_285 Depth=1
	s_or_saveexec_b64 s[0:1], s[0:1]
	v_mov_b32_e32 v16, 0
	s_xor_b64 exec, exec, s[0:1]
	s_cbranch_execz .LBB10_309
; %bb.308:                              ;   in Loop: Header=BB10_285 Depth=1
	global_load_dwordx2 v[10:11], v[4:5], off
	v_add_u32_e32 v16, -8, v13
.LBB10_309:                             ;   in Loop: Header=BB10_285 Depth=1
	s_or_b64 exec, exec, s[0:1]
	v_cmp_gt_u32_e32 vcc, 8, v16
	v_lshl_add_u64 v[4:5], v[14:15], 0, 8
                                        ; implicit-def: $vgpr12_vgpr13
	s_and_saveexec_b64 s[0:1], vcc
	s_xor_b64 s[0:1], exec, s[0:1]
	s_cbranch_execz .LBB10_315
; %bb.310:                              ;   in Loop: Header=BB10_285 Depth=1
	v_cmp_ne_u32_e32 vcc, 0, v16
	v_mov_b64_e32 v[12:13], 0
	s_and_saveexec_b64 s[10:11], vcc
	s_cbranch_execz .LBB10_314
; %bb.311:                              ;   in Loop: Header=BB10_285 Depth=1
	s_mov_b64 s[12:13], 0
	v_mov_b64_e32 v[12:13], 0
	s_mov_b64 s[14:15], 0
	s_mov_b64 s[16:17], 0
.LBB10_312:                             ;   Parent Loop BB10_285 Depth=1
                                        ; =>  This Inner Loop Header: Depth=2
	v_lshl_add_u64 v[4:5], v[14:15], 0, s[16:17]
	global_load_ubyte v4, v[4:5], off
	s_add_u32 s16, s16, 1
	v_mov_b32_e32 v5, s18
	s_addc_u32 s17, s17, 0
	v_cmp_eq_u32_e32 vcc, s16, v16
	s_waitcnt vmcnt(0)
	v_and_b32_e32 v4, 0xffff, v4
	v_lshlrev_b64 v[4:5], s14, v[4:5]
	s_add_u32 s14, s14, 8
	s_addc_u32 s15, s15, 0
	v_or_b32_e32 v13, v5, v13
	s_or_b64 s[12:13], vcc, s[12:13]
	v_or_b32_e32 v12, v4, v12
	s_andn2_b64 exec, exec, s[12:13]
	s_cbranch_execnz .LBB10_312
; %bb.313:                              ;   in Loop: Header=BB10_285 Depth=1
	s_or_b64 exec, exec, s[12:13]
.LBB10_314:                             ;   in Loop: Header=BB10_285 Depth=1
	s_or_b64 exec, exec, s[10:11]
	v_mov_b64_e32 v[4:5], v[14:15]
                                        ; implicit-def: $vgpr16
.LBB10_315:                             ;   in Loop: Header=BB10_285 Depth=1
	s_or_saveexec_b64 s[0:1], s[0:1]
	v_mov_b32_e32 v17, 0
	s_xor_b64 exec, exec, s[0:1]
	s_cbranch_execz .LBB10_317
; %bb.316:                              ;   in Loop: Header=BB10_285 Depth=1
	global_load_dwordx2 v[12:13], v[14:15], off
	v_add_u32_e32 v17, -8, v16
.LBB10_317:                             ;   in Loop: Header=BB10_285 Depth=1
	s_or_b64 exec, exec, s[0:1]
	v_cmp_gt_u32_e32 vcc, 8, v17
	v_lshl_add_u64 v[18:19], v[4:5], 0, 8
	s_and_saveexec_b64 s[0:1], vcc
	s_xor_b64 s[0:1], exec, s[0:1]
	s_cbranch_execz .LBB10_323
; %bb.318:                              ;   in Loop: Header=BB10_285 Depth=1
	v_cmp_ne_u32_e32 vcc, 0, v17
	v_mov_b64_e32 v[14:15], 0
	s_and_saveexec_b64 s[10:11], vcc
	s_cbranch_execz .LBB10_322
; %bb.319:                              ;   in Loop: Header=BB10_285 Depth=1
	s_mov_b64 s[12:13], 0
	v_mov_b64_e32 v[14:15], 0
	s_mov_b64 s[14:15], 0
	s_mov_b64 s[16:17], 0
.LBB10_320:                             ;   Parent Loop BB10_285 Depth=1
                                        ; =>  This Inner Loop Header: Depth=2
	v_lshl_add_u64 v[18:19], v[4:5], 0, s[16:17]
	global_load_ubyte v16, v[18:19], off
	s_add_u32 s16, s16, 1
	v_mov_b32_e32 v19, s18
	s_addc_u32 s17, s17, 0
	v_cmp_eq_u32_e32 vcc, s16, v17
	s_waitcnt vmcnt(0)
	v_and_b32_e32 v18, 0xffff, v16
	v_lshlrev_b64 v[18:19], s14, v[18:19]
	s_add_u32 s14, s14, 8
	s_addc_u32 s15, s15, 0
	v_or_b32_e32 v15, v19, v15
	s_or_b64 s[12:13], vcc, s[12:13]
	v_or_b32_e32 v14, v18, v14
	s_andn2_b64 exec, exec, s[12:13]
	s_cbranch_execnz .LBB10_320
; %bb.321:                              ;   in Loop: Header=BB10_285 Depth=1
	s_or_b64 exec, exec, s[12:13]
.LBB10_322:                             ;   in Loop: Header=BB10_285 Depth=1
	s_or_b64 exec, exec, s[10:11]
	v_mov_b64_e32 v[18:19], v[4:5]
                                        ; implicit-def: $vgpr17
.LBB10_323:                             ;   in Loop: Header=BB10_285 Depth=1
	s_or_saveexec_b64 s[0:1], s[0:1]
	v_mov_b32_e32 v20, 0
	s_xor_b64 exec, exec, s[0:1]
	s_cbranch_execz .LBB10_325
; %bb.324:                              ;   in Loop: Header=BB10_285 Depth=1
	global_load_dwordx2 v[14:15], v[4:5], off
	v_add_u32_e32 v20, -8, v17
.LBB10_325:                             ;   in Loop: Header=BB10_285 Depth=1
	s_or_b64 exec, exec, s[0:1]
	v_cmp_gt_u32_e32 vcc, 8, v20
	v_lshl_add_u64 v[4:5], v[18:19], 0, 8
                                        ; implicit-def: $vgpr16_vgpr17
	s_and_saveexec_b64 s[0:1], vcc
	s_xor_b64 s[0:1], exec, s[0:1]
	s_cbranch_execz .LBB10_331
; %bb.326:                              ;   in Loop: Header=BB10_285 Depth=1
	v_cmp_ne_u32_e32 vcc, 0, v20
	v_mov_b64_e32 v[16:17], 0
	s_and_saveexec_b64 s[10:11], vcc
	s_cbranch_execz .LBB10_330
; %bb.327:                              ;   in Loop: Header=BB10_285 Depth=1
	s_mov_b64 s[12:13], 0
	v_mov_b64_e32 v[16:17], 0
	s_mov_b64 s[14:15], 0
	s_mov_b64 s[16:17], 0
.LBB10_328:                             ;   Parent Loop BB10_285 Depth=1
                                        ; =>  This Inner Loop Header: Depth=2
	v_lshl_add_u64 v[4:5], v[18:19], 0, s[16:17]
	global_load_ubyte v4, v[4:5], off
	s_add_u32 s16, s16, 1
	v_mov_b32_e32 v5, s18
	s_addc_u32 s17, s17, 0
	v_cmp_eq_u32_e32 vcc, s16, v20
	s_waitcnt vmcnt(0)
	v_and_b32_e32 v4, 0xffff, v4
	v_lshlrev_b64 v[4:5], s14, v[4:5]
	s_add_u32 s14, s14, 8
	s_addc_u32 s15, s15, 0
	v_or_b32_e32 v17, v5, v17
	s_or_b64 s[12:13], vcc, s[12:13]
	v_or_b32_e32 v16, v4, v16
	s_andn2_b64 exec, exec, s[12:13]
	s_cbranch_execnz .LBB10_328
; %bb.329:                              ;   in Loop: Header=BB10_285 Depth=1
	s_or_b64 exec, exec, s[12:13]
.LBB10_330:                             ;   in Loop: Header=BB10_285 Depth=1
	s_or_b64 exec, exec, s[10:11]
	v_mov_b64_e32 v[4:5], v[18:19]
                                        ; implicit-def: $vgpr20
.LBB10_331:                             ;   in Loop: Header=BB10_285 Depth=1
	s_or_saveexec_b64 s[0:1], s[0:1]
	v_mov_b32_e32 v21, 0
	s_xor_b64 exec, exec, s[0:1]
	s_cbranch_execz .LBB10_333
; %bb.332:                              ;   in Loop: Header=BB10_285 Depth=1
	global_load_dwordx2 v[16:17], v[18:19], off
	v_add_u32_e32 v21, -8, v20
.LBB10_333:                             ;   in Loop: Header=BB10_285 Depth=1
	s_or_b64 exec, exec, s[0:1]
	v_cmp_gt_u32_e32 vcc, 8, v21
	s_and_saveexec_b64 s[0:1], vcc
	s_xor_b64 s[0:1], exec, s[0:1]
	s_cbranch_execz .LBB10_339
; %bb.334:                              ;   in Loop: Header=BB10_285 Depth=1
	v_cmp_ne_u32_e32 vcc, 0, v21
	v_mov_b64_e32 v[18:19], 0
	s_and_saveexec_b64 s[10:11], vcc
	s_cbranch_execz .LBB10_338
; %bb.335:                              ;   in Loop: Header=BB10_285 Depth=1
	s_mov_b64 s[12:13], 0
	v_mov_b64_e32 v[18:19], 0
	s_mov_b64 s[14:15], 0
.LBB10_336:                             ;   Parent Loop BB10_285 Depth=1
                                        ; =>  This Inner Loop Header: Depth=2
	global_load_ubyte v20, v[4:5], off
	v_mov_b32_e32 v23, s18
	v_add_u32_e32 v21, -1, v21
	v_cmp_eq_u32_e32 vcc, 0, v21
	v_lshl_add_u64 v[4:5], v[4:5], 0, 1
	s_waitcnt vmcnt(0)
	v_and_b32_e32 v22, 0xffff, v20
	v_lshlrev_b64 v[22:23], s14, v[22:23]
	s_add_u32 s14, s14, 8
	s_addc_u32 s15, s15, 0
	v_or_b32_e32 v19, v23, v19
	s_or_b64 s[12:13], vcc, s[12:13]
	v_or_b32_e32 v18, v22, v18
	s_andn2_b64 exec, exec, s[12:13]
	s_cbranch_execnz .LBB10_336
; %bb.337:                              ;   in Loop: Header=BB10_285 Depth=1
	s_or_b64 exec, exec, s[12:13]
.LBB10_338:                             ;   in Loop: Header=BB10_285 Depth=1
	s_or_b64 exec, exec, s[10:11]
                                        ; implicit-def: $vgpr4_vgpr5
.LBB10_339:                             ;   in Loop: Header=BB10_285 Depth=1
	s_andn2_saveexec_b64 s[0:1], s[0:1]
	s_cbranch_execz .LBB10_341
; %bb.340:                              ;   in Loop: Header=BB10_285 Depth=1
	global_load_dwordx2 v[18:19], v[4:5], off
.LBB10_341:                             ;   in Loop: Header=BB10_285 Depth=1
	s_or_b64 exec, exec, s[0:1]
	v_readfirstlane_b32 s0, v48
	v_mov_b64_e32 v[4:5], 0
	s_nop 0
	v_cmp_eq_u32_e64 s[0:1], s0, v48
	s_and_saveexec_b64 s[10:11], s[0:1]
	s_cbranch_execz .LBB10_347
; %bb.342:                              ;   in Loop: Header=BB10_285 Depth=1
	global_load_dwordx2 v[22:23], v31, s[2:3] offset:24 sc0 sc1
	s_waitcnt vmcnt(0)
	buffer_inv sc0 sc1
	global_load_dwordx2 v[4:5], v31, s[2:3] offset:40
	global_load_dwordx2 v[20:21], v31, s[2:3]
	s_waitcnt vmcnt(1)
	v_and_b32_e32 v4, v4, v22
	v_and_b32_e32 v5, v5, v23
	v_mul_lo_u32 v5, v5, 24
	v_mul_hi_u32 v27, v4, 24
	v_add_u32_e32 v5, v27, v5
	v_mul_lo_u32 v4, v4, 24
	s_waitcnt vmcnt(0)
	v_lshl_add_u64 v[4:5], v[20:21], 0, v[4:5]
	global_load_dwordx2 v[20:21], v[4:5], off sc0 sc1
	s_waitcnt vmcnt(0)
	global_atomic_cmpswap_x2 v[4:5], v31, v[20:23], s[2:3] offset:24 sc0 sc1
	s_waitcnt vmcnt(0)
	buffer_inv sc0 sc1
	v_cmp_ne_u64_e32 vcc, v[4:5], v[22:23]
	s_and_saveexec_b64 s[12:13], vcc
	s_cbranch_execz .LBB10_346
; %bb.343:                              ;   in Loop: Header=BB10_285 Depth=1
	s_mov_b64 s[14:15], 0
.LBB10_344:                             ;   Parent Loop BB10_285 Depth=1
                                        ; =>  This Inner Loop Header: Depth=2
	s_sleep 1
	global_load_dwordx2 v[20:21], v31, s[2:3] offset:40
	global_load_dwordx2 v[34:35], v31, s[2:3]
	v_mov_b64_e32 v[22:23], v[4:5]
	s_waitcnt vmcnt(1)
	v_and_b32_e32 v4, v20, v22
	s_waitcnt vmcnt(0)
	v_mad_u64_u32 v[4:5], s[16:17], v4, 24, v[34:35]
	v_and_b32_e32 v21, v21, v23
	v_mov_b32_e32 v20, v5
	v_mad_u64_u32 v[20:21], s[16:17], v21, 24, v[20:21]
	v_mov_b32_e32 v5, v20
	global_load_dwordx2 v[20:21], v[4:5], off sc0 sc1
	s_waitcnt vmcnt(0)
	global_atomic_cmpswap_x2 v[4:5], v31, v[20:23], s[2:3] offset:24 sc0 sc1
	s_waitcnt vmcnt(0)
	buffer_inv sc0 sc1
	v_cmp_eq_u64_e32 vcc, v[4:5], v[22:23]
	s_or_b64 s[14:15], vcc, s[14:15]
	s_andn2_b64 exec, exec, s[14:15]
	s_cbranch_execnz .LBB10_344
; %bb.345:                              ;   in Loop: Header=BB10_285 Depth=1
	s_or_b64 exec, exec, s[14:15]
.LBB10_346:                             ;   in Loop: Header=BB10_285 Depth=1
	s_or_b64 exec, exec, s[12:13]
.LBB10_347:                             ;   in Loop: Header=BB10_285 Depth=1
	s_or_b64 exec, exec, s[10:11]
	global_load_dwordx2 v[34:35], v31, s[2:3] offset:40
	global_load_dwordx4 v[20:23], v31, s[2:3]
	v_readfirstlane_b32 s11, v5
	v_readfirstlane_b32 s10, v4
	s_mov_b64 s[12:13], exec
	s_waitcnt vmcnt(1)
	v_readfirstlane_b32 s14, v34
	v_readfirstlane_b32 s15, v35
	s_and_b64 s[14:15], s[14:15], s[10:11]
	s_mul_i32 s16, s15, 24
	s_mul_hi_u32 s17, s14, 24
	s_add_i32 s17, s17, s16
	s_mul_i32 s16, s14, 24
	s_waitcnt vmcnt(0)
	v_lshl_add_u64 v[4:5], v[20:21], 0, s[16:17]
	s_and_saveexec_b64 s[16:17], s[0:1]
	s_cbranch_execz .LBB10_349
; %bb.348:                              ;   in Loop: Header=BB10_285 Depth=1
	v_mov_b64_e32 v[34:35], s[12:13]
	global_store_dwordx4 v[4:5], v[34:37], off offset:8
.LBB10_349:                             ;   in Loop: Header=BB10_285 Depth=1
	s_or_b64 exec, exec, s[16:17]
	v_cmp_gt_u64_e32 vcc, 57, v[24:25]
	s_lshl_b64 s[12:13], s[14:15], 12
	v_and_b32_e32 v0, 0xffffff1f, v0
	v_cndmask_b32_e32 v27, 0, v26, vcc
	v_lshl_add_u64 v[22:23], v[22:23], 0, s[12:13]
	v_lshl_add_u32 v34, v28, 2, 28
	v_or_b32_e32 v0, v0, v27
	v_and_or_b32 v0, v34, s19, v0
	v_readfirstlane_b32 s12, v22
	v_readfirstlane_b32 s13, v23
	s_nop 4
	global_store_dwordx4 v30, v[0:3], s[12:13]
	global_store_dwordx4 v30, v[8:11], s[12:13] offset:16
	global_store_dwordx4 v30, v[12:15], s[12:13] offset:32
	;; [unrolled: 1-line block ×3, first 2 shown]
	s_and_saveexec_b64 s[12:13], s[0:1]
	s_cbranch_execz .LBB10_357
; %bb.350:                              ;   in Loop: Header=BB10_285 Depth=1
	global_load_dwordx2 v[12:13], v31, s[2:3] offset:32 sc0 sc1
	global_load_dwordx2 v[0:1], v31, s[2:3] offset:40
	v_mov_b32_e32 v10, s10
	v_mov_b32_e32 v11, s11
	s_waitcnt vmcnt(0)
	v_readfirstlane_b32 s14, v0
	v_readfirstlane_b32 s15, v1
	s_and_b64 s[14:15], s[14:15], s[10:11]
	s_mul_i32 s15, s15, 24
	s_mul_hi_u32 s16, s14, 24
	s_mul_i32 s14, s14, 24
	s_add_i32 s15, s16, s15
	v_lshl_add_u64 v[8:9], v[20:21], 0, s[14:15]
	global_store_dwordx2 v[8:9], v[12:13], off
	buffer_wbl2 sc0 sc1
	s_waitcnt vmcnt(0)
	global_atomic_cmpswap_x2 v[2:3], v31, v[10:13], s[2:3] offset:32 sc0 sc1
	s_waitcnt vmcnt(0)
	v_cmp_ne_u64_e32 vcc, v[2:3], v[12:13]
	s_and_saveexec_b64 s[14:15], vcc
	s_cbranch_execz .LBB10_353
; %bb.351:                              ;   in Loop: Header=BB10_285 Depth=1
	s_mov_b64 s[16:17], 0
.LBB10_352:                             ;   Parent Loop BB10_285 Depth=1
                                        ; =>  This Inner Loop Header: Depth=2
	s_sleep 1
	global_store_dwordx2 v[8:9], v[2:3], off
	v_mov_b32_e32 v0, s10
	v_mov_b32_e32 v1, s11
	buffer_wbl2 sc0 sc1
	s_waitcnt vmcnt(0)
	global_atomic_cmpswap_x2 v[0:1], v31, v[0:3], s[2:3] offset:32 sc0 sc1
	s_waitcnt vmcnt(0)
	v_cmp_eq_u64_e32 vcc, v[0:1], v[2:3]
	s_or_b64 s[16:17], vcc, s[16:17]
	v_mov_b64_e32 v[2:3], v[0:1]
	s_andn2_b64 exec, exec, s[16:17]
	s_cbranch_execnz .LBB10_352
.LBB10_353:                             ;   in Loop: Header=BB10_285 Depth=1
	s_or_b64 exec, exec, s[14:15]
	global_load_dwordx2 v[0:1], v31, s[2:3] offset:16
	s_mov_b64 s[16:17], exec
	v_mbcnt_lo_u32_b32 v2, s16, 0
	v_mbcnt_hi_u32_b32 v2, s17, v2
	v_cmp_eq_u32_e32 vcc, 0, v2
	s_and_saveexec_b64 s[14:15], vcc
	s_cbranch_execz .LBB10_355
; %bb.354:                              ;   in Loop: Header=BB10_285 Depth=1
	s_bcnt1_i32_b64 s16, s[16:17]
	v_mov_b32_e32 v2, s16
	v_mov_b32_e32 v3, v31
	buffer_wbl2 sc0 sc1
	s_waitcnt vmcnt(0)
	global_atomic_add_x2 v[0:1], v[2:3], off offset:8 sc1
.LBB10_355:                             ;   in Loop: Header=BB10_285 Depth=1
	s_or_b64 exec, exec, s[14:15]
	s_waitcnt vmcnt(0)
	global_load_dwordx2 v[2:3], v[0:1], off offset:16
	s_waitcnt vmcnt(0)
	v_cmp_eq_u64_e32 vcc, 0, v[2:3]
	s_cbranch_vccnz .LBB10_357
; %bb.356:                              ;   in Loop: Header=BB10_285 Depth=1
	global_load_dword v0, v[0:1], off offset:24
	v_mov_b32_e32 v1, v31
	s_waitcnt vmcnt(0)
	v_readfirstlane_b32 s14, v0
	s_and_b32 m0, s14, 0xffffff
	buffer_wbl2 sc0 sc1
	global_store_dwordx2 v[2:3], v[0:1], off sc0 sc1
	s_sendmsg sendmsg(MSG_INTERRUPT)
.LBB10_357:                             ;   in Loop: Header=BB10_285 Depth=1
	s_or_b64 exec, exec, s[12:13]
	v_lshl_add_u64 v[0:1], v[22:23], 0, v[30:31]
	s_branch .LBB10_361
.LBB10_358:                             ;   in Loop: Header=BB10_361 Depth=2
	s_or_b64 exec, exec, s[12:13]
	v_readfirstlane_b32 s12, v2
	s_cmp_eq_u32 s12, 0
	s_cbranch_scc1 .LBB10_360
; %bb.359:                              ;   in Loop: Header=BB10_361 Depth=2
	s_sleep 1
	s_cbranch_execnz .LBB10_361
	s_branch .LBB10_363
.LBB10_360:                             ;   in Loop: Header=BB10_285 Depth=1
	s_branch .LBB10_363
.LBB10_361:                             ;   Parent Loop BB10_285 Depth=1
                                        ; =>  This Inner Loop Header: Depth=2
	v_mov_b32_e32 v2, 1
	s_and_saveexec_b64 s[12:13], s[0:1]
	s_cbranch_execz .LBB10_358
; %bb.362:                              ;   in Loop: Header=BB10_361 Depth=2
	global_load_dword v2, v[4:5], off offset:20 sc0 sc1
	s_waitcnt vmcnt(0)
	buffer_inv sc0 sc1
	v_and_b32_e32 v2, 1, v2
	s_branch .LBB10_358
.LBB10_363:                             ;   in Loop: Header=BB10_285 Depth=1
	global_load_dwordx2 v[0:1], v[0:1], off
	s_and_saveexec_b64 s[12:13], s[0:1]
	s_cbranch_execz .LBB10_284
; %bb.364:                              ;   in Loop: Header=BB10_285 Depth=1
	global_load_dwordx2 v[2:3], v31, s[2:3] offset:40
	global_load_dwordx2 v[12:13], v31, s[2:3] offset:24 sc0 sc1
	global_load_dwordx2 v[4:5], v31, s[2:3]
	s_waitcnt vmcnt(2)
	v_readfirstlane_b32 s14, v2
	v_readfirstlane_b32 s15, v3
	s_add_u32 s16, s14, 1
	s_addc_u32 s17, s15, 0
	s_add_u32 s0, s16, s10
	s_addc_u32 s1, s17, s11
	s_cmp_eq_u64 s[0:1], 0
	s_cselect_b32 s1, s17, s1
	s_cselect_b32 s0, s16, s0
	s_and_b64 s[10:11], s[0:1], s[14:15]
	s_mul_i32 s11, s11, 24
	s_mul_hi_u32 s14, s10, 24
	s_mul_i32 s10, s10, 24
	s_add_i32 s11, s14, s11
	s_waitcnt vmcnt(0)
	v_lshl_add_u64 v[8:9], v[4:5], 0, s[10:11]
	v_mov_b32_e32 v10, s0
	global_store_dwordx2 v[8:9], v[12:13], off
	v_mov_b32_e32 v11, s1
	buffer_wbl2 sc0 sc1
	s_waitcnt vmcnt(0)
	global_atomic_cmpswap_x2 v[4:5], v31, v[10:13], s[2:3] offset:24 sc0 sc1
	s_waitcnt vmcnt(0)
	v_cmp_ne_u64_e32 vcc, v[4:5], v[12:13]
	s_and_b64 exec, exec, vcc
	s_cbranch_execz .LBB10_284
; %bb.365:                              ;   in Loop: Header=BB10_285 Depth=1
	s_mov_b64 s[10:11], 0
.LBB10_366:                             ;   Parent Loop BB10_285 Depth=1
                                        ; =>  This Inner Loop Header: Depth=2
	s_sleep 1
	global_store_dwordx2 v[8:9], v[4:5], off
	v_mov_b32_e32 v2, s0
	v_mov_b32_e32 v3, s1
	buffer_wbl2 sc0 sc1
	s_waitcnt vmcnt(0)
	global_atomic_cmpswap_x2 v[2:3], v31, v[2:5], s[2:3] offset:24 sc0 sc1
	s_waitcnt vmcnt(0)
	v_cmp_eq_u64_e32 vcc, v[2:3], v[4:5]
	s_or_b64 s[10:11], vcc, s[10:11]
	v_mov_b64_e32 v[4:5], v[2:3]
	s_andn2_b64 exec, exec, s[10:11]
	s_cbranch_execnz .LBB10_366
	s_branch .LBB10_284
.LBB10_367:
	s_or_b64 exec, exec, s[4:5]
                                        ; implicit-def: $vgpr30
                                        ; implicit-def: $vgpr48
.LBB10_368:
	s_andn2_saveexec_b64 s[4:5], s[6:7]
	s_cbranch_execz .LBB10_395
; %bb.369:
	v_readfirstlane_b32 s0, v48
	v_mov_b64_e32 v[2:3], 0
	s_nop 0
	v_cmp_eq_u32_e64 s[0:1], s0, v48
	s_and_saveexec_b64 s[6:7], s[0:1]
	s_cbranch_execz .LBB10_375
; %bb.370:
	v_mov_b32_e32 v4, 0
	global_load_dwordx2 v[10:11], v4, s[2:3] offset:24 sc0 sc1
	s_waitcnt vmcnt(0)
	buffer_inv sc0 sc1
	global_load_dwordx2 v[2:3], v4, s[2:3] offset:40
	global_load_dwordx2 v[8:9], v4, s[2:3]
	s_waitcnt vmcnt(1)
	v_and_b32_e32 v2, v2, v10
	v_and_b32_e32 v3, v3, v11
	v_mul_lo_u32 v3, v3, 24
	v_mul_hi_u32 v5, v2, 24
	v_add_u32_e32 v3, v5, v3
	v_mul_lo_u32 v2, v2, 24
	s_waitcnt vmcnt(0)
	v_lshl_add_u64 v[2:3], v[8:9], 0, v[2:3]
	global_load_dwordx2 v[8:9], v[2:3], off sc0 sc1
	s_waitcnt vmcnt(0)
	global_atomic_cmpswap_x2 v[2:3], v4, v[8:11], s[2:3] offset:24 sc0 sc1
	s_waitcnt vmcnt(0)
	buffer_inv sc0 sc1
	v_cmp_ne_u64_e32 vcc, v[2:3], v[10:11]
	s_and_saveexec_b64 s[10:11], vcc
	s_cbranch_execz .LBB10_374
; %bb.371:
	s_mov_b64 s[12:13], 0
.LBB10_372:                             ; =>This Inner Loop Header: Depth=1
	s_sleep 1
	global_load_dwordx2 v[8:9], v4, s[2:3] offset:40
	global_load_dwordx2 v[12:13], v4, s[2:3]
	v_mov_b64_e32 v[10:11], v[2:3]
	s_waitcnt vmcnt(1)
	v_and_b32_e32 v2, v8, v10
	s_waitcnt vmcnt(0)
	v_mad_u64_u32 v[2:3], s[14:15], v2, 24, v[12:13]
	v_and_b32_e32 v5, v9, v11
	v_mov_b32_e32 v8, v3
	v_mad_u64_u32 v[8:9], s[14:15], v5, 24, v[8:9]
	v_mov_b32_e32 v3, v8
	global_load_dwordx2 v[8:9], v[2:3], off sc0 sc1
	s_waitcnt vmcnt(0)
	global_atomic_cmpswap_x2 v[2:3], v4, v[8:11], s[2:3] offset:24 sc0 sc1
	s_waitcnt vmcnt(0)
	buffer_inv sc0 sc1
	v_cmp_eq_u64_e32 vcc, v[2:3], v[10:11]
	s_or_b64 s[12:13], vcc, s[12:13]
	s_andn2_b64 exec, exec, s[12:13]
	s_cbranch_execnz .LBB10_372
; %bb.373:
	s_or_b64 exec, exec, s[12:13]
.LBB10_374:
	s_or_b64 exec, exec, s[10:11]
.LBB10_375:
	s_or_b64 exec, exec, s[6:7]
	v_mov_b32_e32 v31, 0
	global_load_dwordx2 v[4:5], v31, s[2:3] offset:40
	global_load_dwordx4 v[8:11], v31, s[2:3]
	v_readfirstlane_b32 s7, v3
	v_readfirstlane_b32 s6, v2
	s_mov_b64 s[10:11], exec
	s_waitcnt vmcnt(1)
	v_readfirstlane_b32 s12, v4
	v_readfirstlane_b32 s13, v5
	s_and_b64 s[12:13], s[12:13], s[6:7]
	s_mul_i32 s14, s13, 24
	s_mul_hi_u32 s15, s12, 24
	s_add_i32 s15, s15, s14
	s_mul_i32 s14, s12, 24
	s_waitcnt vmcnt(0)
	v_lshl_add_u64 v[4:5], v[8:9], 0, s[14:15]
	s_and_saveexec_b64 s[14:15], s[0:1]
	s_cbranch_execz .LBB10_377
; %bb.376:
	v_mov_b64_e32 v[12:13], s[10:11]
	v_mov_b32_e32 v14, 2
	v_mov_b32_e32 v15, 1
	global_store_dwordx4 v[4:5], v[12:15], off offset:8
.LBB10_377:
	s_or_b64 exec, exec, s[14:15]
	s_lshl_b64 s[10:11], s[12:13], 12
	v_lshl_add_u64 v[10:11], v[10:11], 0, s[10:11]
	s_movk_i32 s10, 0xff1f
	s_mov_b32 s12, 0
	v_and_or_b32 v0, v0, s10, 32
	v_mov_b32_e32 v2, v31
	v_mov_b32_e32 v3, v31
	v_readfirstlane_b32 s10, v10
	v_readfirstlane_b32 s11, v11
	s_mov_b32 s13, s12
	s_mov_b32 s14, s12
	;; [unrolled: 1-line block ×3, first 2 shown]
	s_nop 1
	global_store_dwordx4 v30, v[0:3], s[10:11]
	s_nop 1
	v_mov_b64_e32 v[0:1], s[12:13]
	v_mov_b64_e32 v[2:3], s[14:15]
	global_store_dwordx4 v30, v[0:3], s[10:11] offset:16
	global_store_dwordx4 v30, v[0:3], s[10:11] offset:32
	;; [unrolled: 1-line block ×3, first 2 shown]
	s_and_saveexec_b64 s[10:11], s[0:1]
	s_cbranch_execz .LBB10_385
; %bb.378:
	v_mov_b32_e32 v12, 0
	global_load_dwordx2 v[16:17], v12, s[2:3] offset:32 sc0 sc1
	global_load_dwordx2 v[0:1], v12, s[2:3] offset:40
	v_mov_b32_e32 v14, s6
	v_mov_b32_e32 v15, s7
	s_waitcnt vmcnt(0)
	v_readfirstlane_b32 s12, v0
	v_readfirstlane_b32 s13, v1
	s_and_b64 s[12:13], s[12:13], s[6:7]
	s_mul_i32 s13, s13, 24
	s_mul_hi_u32 s14, s12, 24
	s_mul_i32 s12, s12, 24
	s_add_i32 s13, s14, s13
	v_lshl_add_u64 v[8:9], v[8:9], 0, s[12:13]
	global_store_dwordx2 v[8:9], v[16:17], off
	buffer_wbl2 sc0 sc1
	s_waitcnt vmcnt(0)
	global_atomic_cmpswap_x2 v[2:3], v12, v[14:17], s[2:3] offset:32 sc0 sc1
	s_waitcnt vmcnt(0)
	v_cmp_ne_u64_e32 vcc, v[2:3], v[16:17]
	s_and_saveexec_b64 s[12:13], vcc
	s_cbranch_execz .LBB10_381
; %bb.379:
	s_mov_b64 s[14:15], 0
.LBB10_380:                             ; =>This Inner Loop Header: Depth=1
	s_sleep 1
	global_store_dwordx2 v[8:9], v[2:3], off
	v_mov_b32_e32 v0, s6
	v_mov_b32_e32 v1, s7
	buffer_wbl2 sc0 sc1
	s_waitcnt vmcnt(0)
	global_atomic_cmpswap_x2 v[0:1], v12, v[0:3], s[2:3] offset:32 sc0 sc1
	s_waitcnt vmcnt(0)
	v_cmp_eq_u64_e32 vcc, v[0:1], v[2:3]
	s_or_b64 s[14:15], vcc, s[14:15]
	v_mov_b64_e32 v[2:3], v[0:1]
	s_andn2_b64 exec, exec, s[14:15]
	s_cbranch_execnz .LBB10_380
.LBB10_381:
	s_or_b64 exec, exec, s[12:13]
	v_mov_b32_e32 v3, 0
	global_load_dwordx2 v[0:1], v3, s[2:3] offset:16
	s_mov_b64 s[12:13], exec
	v_mbcnt_lo_u32_b32 v2, s12, 0
	v_mbcnt_hi_u32_b32 v2, s13, v2
	v_cmp_eq_u32_e32 vcc, 0, v2
	s_and_saveexec_b64 s[14:15], vcc
	s_cbranch_execz .LBB10_383
; %bb.382:
	s_bcnt1_i32_b64 s12, s[12:13]
	v_mov_b32_e32 v2, s12
	buffer_wbl2 sc0 sc1
	s_waitcnt vmcnt(0)
	global_atomic_add_x2 v[0:1], v[2:3], off offset:8 sc1
.LBB10_383:
	s_or_b64 exec, exec, s[14:15]
	s_waitcnt vmcnt(0)
	global_load_dwordx2 v[2:3], v[0:1], off offset:16
	s_waitcnt vmcnt(0)
	v_cmp_eq_u64_e32 vcc, 0, v[2:3]
	s_cbranch_vccnz .LBB10_385
; %bb.384:
	global_load_dword v0, v[0:1], off offset:24
	v_mov_b32_e32 v1, 0
	s_waitcnt vmcnt(0)
	v_readfirstlane_b32 s12, v0
	s_and_b32 m0, s12, 0xffffff
	buffer_wbl2 sc0 sc1
	global_store_dwordx2 v[2:3], v[0:1], off sc0 sc1
	s_sendmsg sendmsg(MSG_INTERRUPT)
.LBB10_385:
	s_or_b64 exec, exec, s[10:11]
	v_lshl_add_u64 v[0:1], v[10:11], 0, v[30:31]
	s_branch .LBB10_389
.LBB10_386:                             ;   in Loop: Header=BB10_389 Depth=1
	s_or_b64 exec, exec, s[10:11]
	v_readfirstlane_b32 s10, v2
	s_cmp_eq_u32 s10, 0
	s_cbranch_scc1 .LBB10_388
; %bb.387:                              ;   in Loop: Header=BB10_389 Depth=1
	s_sleep 1
	s_cbranch_execnz .LBB10_389
	s_branch .LBB10_391
.LBB10_388:
	s_branch .LBB10_391
.LBB10_389:                             ; =>This Inner Loop Header: Depth=1
	v_mov_b32_e32 v2, 1
	s_and_saveexec_b64 s[10:11], s[0:1]
	s_cbranch_execz .LBB10_386
; %bb.390:                              ;   in Loop: Header=BB10_389 Depth=1
	global_load_dword v2, v[4:5], off offset:20 sc0 sc1
	s_waitcnt vmcnt(0)
	buffer_inv sc0 sc1
	v_and_b32_e32 v2, 1, v2
	s_branch .LBB10_386
.LBB10_391:
	global_load_dwordx2 v[0:1], v[0:1], off
	s_and_saveexec_b64 s[10:11], s[0:1]
	s_cbranch_execz .LBB10_394
; %bb.392:
	v_mov_b32_e32 v10, 0
	global_load_dwordx2 v[2:3], v10, s[2:3] offset:40
	global_load_dwordx2 v[14:15], v10, s[2:3] offset:24 sc0 sc1
	global_load_dwordx2 v[4:5], v10, s[2:3]
	s_waitcnt vmcnt(2)
	v_readfirstlane_b32 s12, v2
	v_readfirstlane_b32 s13, v3
	s_add_u32 s14, s12, 1
	s_addc_u32 s15, s13, 0
	s_add_u32 s0, s14, s6
	s_addc_u32 s1, s15, s7
	s_cmp_eq_u64 s[0:1], 0
	s_cselect_b32 s1, s15, s1
	s_cselect_b32 s0, s14, s0
	s_and_b64 s[6:7], s[0:1], s[12:13]
	s_mul_i32 s7, s7, 24
	s_mul_hi_u32 s12, s6, 24
	s_mul_i32 s6, s6, 24
	s_add_i32 s7, s12, s7
	s_waitcnt vmcnt(0)
	v_lshl_add_u64 v[8:9], v[4:5], 0, s[6:7]
	v_mov_b32_e32 v12, s0
	global_store_dwordx2 v[8:9], v[14:15], off
	v_mov_b32_e32 v13, s1
	buffer_wbl2 sc0 sc1
	s_waitcnt vmcnt(0)
	global_atomic_cmpswap_x2 v[4:5], v10, v[12:15], s[2:3] offset:24 sc0 sc1
	s_mov_b64 s[6:7], 0
	s_waitcnt vmcnt(0)
	v_cmp_ne_u64_e32 vcc, v[4:5], v[14:15]
	s_and_b64 exec, exec, vcc
	s_cbranch_execz .LBB10_394
.LBB10_393:                             ; =>This Inner Loop Header: Depth=1
	s_sleep 1
	global_store_dwordx2 v[8:9], v[4:5], off
	v_mov_b32_e32 v2, s0
	v_mov_b32_e32 v3, s1
	buffer_wbl2 sc0 sc1
	s_waitcnt vmcnt(0)
	global_atomic_cmpswap_x2 v[2:3], v10, v[2:5], s[2:3] offset:24 sc0 sc1
	s_waitcnt vmcnt(0)
	v_cmp_eq_u64_e32 vcc, v[2:3], v[4:5]
	s_or_b64 s[6:7], vcc, s[6:7]
	v_mov_b64_e32 v[4:5], v[2:3]
	s_andn2_b64 exec, exec, s[6:7]
	s_cbranch_execnz .LBB10_393
.LBB10_394:
	s_or_b64 exec, exec, s[10:11]
.LBB10_395:
	s_or_b64 exec, exec, s[4:5]
	s_mov_b64 s[0:1], 0
	v_mov_b64_e32 v[2:3], v[6:7]
.LBB10_396:                             ; =>This Inner Loop Header: Depth=1
	global_load_ubyte v4, v[2:3], off
	v_lshl_add_u64 v[2:3], v[2:3], 0, 1
	s_waitcnt vmcnt(0)
	v_cmp_eq_u16_e32 vcc, 0, v4
	s_or_b64 s[0:1], vcc, s[0:1]
	s_andn2_b64 exec, exec, s[0:1]
	s_cbranch_execnz .LBB10_396
; %bb.397:
	s_or_b64 exec, exec, s[0:1]
	v_sub_u32_e32 v4, v2, v6
	v_ashrrev_i32_e32 v5, 31, v4
	s_getpc_b64 s[0:1]
	s_add_u32 s0, s0, __ockl_fprintf_append_string_n@rel32@lo+4
	s_addc_u32 s1, s1, __ockl_fprintf_append_string_n@rel32@hi+12
	v_mov_b32_e32 v2, v6
	v_mov_b32_e32 v3, v7
	;; [unrolled: 1-line block ×3, first 2 shown]
	s_swappc_b64 s[30:31], s[0:1]
	s_trap 2
.Lfunc_end10:
	.size	__assert_fail, .Lfunc_end10-__assert_fail
                                        ; -- End function
	.set .L__assert_fail.num_vgpr, max(54, .L__ockl_fprintf_append_string_n.num_vgpr)
	.set .L__assert_fail.num_agpr, max(0, .L__ockl_fprintf_append_string_n.num_agpr)
	.set .L__assert_fail.numbered_sgpr, max(34, .L__ockl_fprintf_append_string_n.numbered_sgpr)
	.set .L__assert_fail.num_named_barrier, max(0, .L__ockl_fprintf_append_string_n.num_named_barrier)
	.set .L__assert_fail.private_seg_size, 64+max(.L__ockl_fprintf_append_string_n.private_seg_size)
	.set .L__assert_fail.uses_vcc, or(1, .L__ockl_fprintf_append_string_n.uses_vcc)
	.set .L__assert_fail.uses_flat_scratch, or(0, .L__ockl_fprintf_append_string_n.uses_flat_scratch)
	.set .L__assert_fail.has_dyn_sized_stack, or(0, .L__ockl_fprintf_append_string_n.has_dyn_sized_stack)
	.set .L__assert_fail.has_recursion, or(0, .L__ockl_fprintf_append_string_n.has_recursion)
	.set .L__assert_fail.has_indirect_call, or(0, .L__ockl_fprintf_append_string_n.has_indirect_call)
	.section	.AMDGPU.csdata,"",@progbits
; Function info:
; codeLenInByte = 13740
; TotalNumSgprs: 40
; NumVgprs: 54
; NumAgprs: 0
; TotalNumVgprs: 54
; ScratchSize: 64
; MemoryBound: 0
	.section	.text._ZN9rocsolver6v33100L15syevx_sort_eigsIffPfEEviPiPT0_lT1_iilS3_lS3_S3_,"axG",@progbits,_ZN9rocsolver6v33100L15syevx_sort_eigsIffPfEEviPiPT0_lT1_iilS3_lS3_S3_,comdat
	.globl	_ZN9rocsolver6v33100L15syevx_sort_eigsIffPfEEviPiPT0_lT1_iilS3_lS3_S3_ ; -- Begin function _ZN9rocsolver6v33100L15syevx_sort_eigsIffPfEEviPiPT0_lT1_iilS3_lS3_S3_
	.p2align	8
	.type	_ZN9rocsolver6v33100L15syevx_sort_eigsIffPfEEviPiPT0_lT1_iilS3_lS3_S3_,@function
_ZN9rocsolver6v33100L15syevx_sort_eigsIffPfEEviPiPT0_lT1_iilS3_lS3_S3_: ; @_ZN9rocsolver6v33100L15syevx_sort_eigsIffPfEEviPiPT0_lT1_iilS3_lS3_S3_
; %bb.0:
	s_mov_b64 s[22:23], s[0:1]
	s_load_dwordx8 s[36:43], s[0:1], 0x8
	s_load_dwordx8 s[44:51], s[0:1], 0x30
	s_nop 0
	s_load_dwordx2 s[0:1], s[0:1], 0x50
	s_mov_b32 s28, s3
	s_mov_b32 s29, 0
	s_lshl_b64 s[2:3], s[28:29], 2
	s_waitcnt lgkmcnt(0)
	s_add_u32 s4, s36, s2
	s_addc_u32 s5, s37, s3
	s_load_dword s29, s[4:5], 0x0
	s_add_u32 s2, s50, s2
	s_addc_u32 s3, s51, s3
	s_mov_b64 s[34:35], 0
	s_cmp_eq_u64 s[46:47], 0
	s_mov_b64 s[26:27], 0
	s_mov_b32 s32, 0
	s_cbranch_scc1 .LBB11_2
; %bb.1:
	s_mul_i32 s4, s49, s28
	s_mul_hi_u32 s5, s48, s28
	s_add_i32 s5, s5, s4
	s_mul_i32 s4, s48, s28
	s_lshl_b64 s[4:5], s[4:5], 2
	s_add_u32 s26, s46, s4
	s_addc_u32 s27, s47, s5
.LBB11_2:
	s_load_dword s48, s[22:23], 0x0
	s_mov_b64 s[4:5], -1
	s_waitcnt lgkmcnt(0)
	s_cmp_le_i32 s29, s48
	s_cbranch_scc1 .LBB11_6
; %bb.3:
	s_and_b64 vcc, exec, s[4:5]
	s_cbranch_vccnz .LBB11_80
.LBB11_4:
	s_and_saveexec_b64 s[0:1], s[34:35]
	s_cbranch_execnz .LBB11_81
.LBB11_5:
	s_endpgm
.LBB11_6:
	s_cmp_lg_u64 s[0:1], 0
	s_mov_b64 s[46:47], 0
	s_cbranch_scc0 .LBB11_28
; %bb.7:
	s_load_dwordx2 s[4:5], s[22:23], 0x64
	s_load_dword s49, s[2:3], 0x0
	s_mul_i32 s2, s48, s28
	s_mov_b32 s3, 0
	s_lshl_b64 s[2:3], s[2:3], 2
	s_waitcnt lgkmcnt(0)
	s_and_b32 s5, s5, 0xffff
	s_lshr_b32 s6, s4, 16
	s_and_b32 s7, s4, 0xffff
	s_and_b32 s8, s5, 0xffff
	s_add_u32 s24, s0, s2
	s_addc_u32 s25, s1, s3
	s_cmp_gt_i32 s29, 0
	s_cselect_b64 s[2:3], -1, 0
	s_cmp_lg_u64 s[38:39], 0
	s_cselect_b64 s[4:5], -1, 0
	s_and_b64 s[2:3], s[4:5], s[2:3]
	v_bfe_u32 v2, v0, 10, 10
	v_bfe_u32 v3, v0, 20, 10
	s_mul_i32 s21, s6, s7
	v_and_b32_e32 v41, 0x3ff, v0
	s_and_b64 vcc, exec, s[2:3]
	v_mul_u32_u24_e32 v43, s7, v2
	v_mul_lo_u32 v44, s21, v3
	s_mul_i32 s21, s21, s8
	s_barrier
	s_cbranch_vccz .LBB11_29
; %bb.8:
	v_add3_u32 v42, v43, v41, v44
	s_cmp_lg_u64 s[0:1], 0
	s_cselect_b64 s[0:1], -1, 0
	v_cmp_gt_u32_e32 vcc, s29, v42
	s_mov_b64 s[2:3], 0
	s_and_b64 s[6:7], s[0:1], vcc
	s_barrier
	s_and_saveexec_b64 s[4:5], s[6:7]
	s_cbranch_execz .LBB11_11
; %bb.9:
	v_mov_b32_e32 v1, 0
	v_mov_b32_e32 v0, v42
.LBB11_10:                              ; =>This Inner Loop Header: Depth=1
	v_lshl_add_u64 v[4:5], v[0:1], 2, s[24:25]
	global_store_dword v[4:5], v0, off
	v_add_u32_e32 v0, s21, v0
	v_cmp_le_u32_e32 vcc, s29, v0
	s_or_b64 s[2:3], vcc, s[2:3]
	s_andn2_b64 exec, exec, s[2:3]
	s_cbranch_execnz .LBB11_10
.LBB11_11:
	s_or_b64 exec, exec, s[4:5]
	s_mul_i32 s2, s41, s28
	s_mul_hi_u32 s3, s40, s28
	s_add_i32 s3, s3, s2
	s_mul_i32 s2, s40, s28
	s_lshl_b64 s[2:3], s[2:3], 2
	v_or3_b32 v0, v2, v3, v41
	s_add_u32 s2, s38, s2
	s_mov_b32 s5, 0
	v_cmp_eq_u32_e32 vcc, 0, v0
	s_addc_u32 s3, s39, s3
	s_barrier
	s_and_saveexec_b64 s[6:7], vcc
	s_cbranch_execz .LBB11_30
; %bb.12:
	v_cndmask_b32_e64 v1, 0, 1, s[0:1]
	v_mov_b32_e32 v0, 0
	v_cmp_ne_u32_e64 s[0:1], 1, v1
	s_mov_b32 s8, s5
	s_branch .LBB11_14
.LBB11_13:                              ;   in Loop: Header=BB11_14 Depth=1
	s_add_i32 s8, s8, 1
	s_cmp_eq_u32 s8, 8
	s_cbranch_scc1 .LBB11_30
.LBB11_14:                              ; =>This Loop Header: Depth=1
                                        ;     Child Loop BB11_17 Depth 2
                                        ;       Child Loop BB11_21 Depth 3
	s_mov_b32 s9, s5
	s_lshl_b64 s[10:11], s[8:9], 2
	s_getpc_b64 s[12:13]
	s_add_u32 s12, s12, __const._ZN9rocsolver6v33100L20shell_sort_ascendingIfiEEvT0_PT_PS2_.gaps@rel32@lo+4
	s_addc_u32 s13, s13, __const._ZN9rocsolver6v33100L20shell_sort_ascendingIfiEEvT0_PT_PS2_.gaps@rel32@hi+12
	s_add_u32 s10, s12, s10
	s_addc_u32 s11, s13, s11
	s_load_dword s9, s[10:11], 0x0
	s_waitcnt lgkmcnt(0)
	s_cmp_ge_i32 s9, s29
	s_cbranch_scc1 .LBB11_13
; %bb.15:                               ;   in Loop: Header=BB11_14 Depth=1
	s_mov_b32 s18, 0
	s_mov_b32 s10, s9
	s_branch .LBB11_17
.LBB11_16:                              ;   in Loop: Header=BB11_17 Depth=2
	s_add_i32 s10, s10, 1
	s_add_i32 s18, s18, 1
	s_cmp_ge_i32 s10, s29
	s_cbranch_scc1 .LBB11_13
.LBB11_17:                              ;   Parent Loop BB11_14 Depth=1
                                        ; =>  This Loop Header: Depth=2
                                        ;       Child Loop BB11_21 Depth 3
	s_ashr_i32 s11, s10, 31
	s_lshl_b64 s[12:13], s[10:11], 2
	s_add_u32 s14, s2, s12
	s_addc_u32 s15, s3, s13
	global_load_dword v1, v0, s[14:15]
	s_and_b64 vcc, exec, s[0:1]
	s_cbranch_vccnz .LBB11_19
; %bb.18:                               ;   in Loop: Header=BB11_17 Depth=2
	s_add_u32 s12, s24, s12
	s_addc_u32 s13, s25, s13
	global_load_dword v3, v0, s[12:13]
	s_cmp_lt_i32 s10, s9
	s_mov_b64 s[12:13], s[10:11]
	s_mov_b32 s4, s18
	s_cbranch_scc0 .LBB11_21
	s_branch .LBB11_26
.LBB11_19:                              ;   in Loop: Header=BB11_17 Depth=2
	v_mov_b32_e32 v3, 0
	s_cmp_lt_i32 s10, s9
	s_mov_b64 s[12:13], s[10:11]
	s_mov_b32 s4, s18
	s_cbranch_scc0 .LBB11_21
	s_branch .LBB11_26
.LBB11_20:                              ;   in Loop: Header=BB11_21 Depth=3
                                        ; implicit-def: $sgpr11
	s_and_b64 vcc, exec, s[16:17]
	s_mov_b32 s4, s11
	s_cbranch_vccnz .LBB11_25
.LBB11_21:                              ;   Parent Loop BB11_14 Depth=1
                                        ;     Parent Loop BB11_17 Depth=2
                                        ; =>    This Inner Loop Header: Depth=3
	s_add_i32 s12, s9, s4
	s_lshl_b64 s[14:15], s[4:5], 2
	s_add_u32 s16, s2, s14
	s_addc_u32 s17, s3, s15
	global_load_dword v2, v0, s[16:17]
	s_mov_b64 s[16:17], -1
	s_waitcnt vmcnt(0)
	v_cmp_ngt_f32_e32 vcc, v2, v1
	s_cbranch_vccnz .LBB11_20
; %bb.22:                               ;   in Loop: Header=BB11_21 Depth=3
	s_ashr_i32 s13, s12, 31
	s_lshl_b64 s[12:13], s[12:13], 2
	s_add_u32 s16, s2, s12
	s_addc_u32 s17, s3, s13
	s_and_b64 vcc, exec, s[0:1]
	global_store_dword v0, v2, s[16:17]
	s_cbranch_vccnz .LBB11_24
; %bb.23:                               ;   in Loop: Header=BB11_21 Depth=3
	s_add_u32 s12, s24, s12
	s_addc_u32 s13, s25, s13
	s_add_u32 s14, s24, s14
	s_addc_u32 s15, s25, s15
	global_load_dword v2, v0, s[14:15]
	s_waitcnt vmcnt(0)
	global_store_dword v0, v2, s[12:13]
.LBB11_24:                              ;   in Loop: Header=BB11_21 Depth=3
	s_sub_i32 s11, s4, s9
	s_cmp_lt_i32 s4, s9
	s_cselect_b64 s[16:17], -1, 0
	s_mov_b32 s12, s4
	s_and_b64 vcc, exec, s[16:17]
	s_mov_b32 s4, s11
	s_cbranch_vccz .LBB11_21
.LBB11_25:                              ;   in Loop: Header=BB11_17 Depth=2
	s_ashr_i32 s13, s12, 31
.LBB11_26:                              ;   in Loop: Header=BB11_17 Depth=2
	s_lshl_b64 s[12:13], s[12:13], 2
	s_add_u32 s14, s2, s12
	s_addc_u32 s15, s3, s13
	s_and_b64 vcc, exec, s[0:1]
	s_waitcnt vmcnt(0)
	global_store_dword v0, v1, s[14:15]
	s_cbranch_vccnz .LBB11_16
; %bb.27:                               ;   in Loop: Header=BB11_17 Depth=2
	s_add_u32 s12, s24, s12
	s_addc_u32 s13, s25, s13
	global_store_dword v0, v3, s[12:13]
	s_branch .LBB11_16
.LBB11_28:
	s_cbranch_execnz .LBB11_78
	s_branch .LBB11_79
.LBB11_29:
                                        ; implicit-def: $vgpr42
                                        ; implicit-def: $vgpr4
	s_cbranch_execnz .LBB11_45
	s_branch .LBB11_46
.LBB11_30:
	s_or_b64 exec, exec, s[6:7]
	s_cmp_lt_u32 s29, 2
	s_cselect_b64 s[6:7], -1, 0
	s_mov_b64 s[46:47], 0
	s_and_b64 vcc, exec, s[6:7]
	s_barrier
	s_cbranch_vccnz .LBB11_38
; %bb.31:
	s_add_i32 s16, s29, -1
	v_cmp_gt_u32_e32 vcc, s16, v42
	s_mov_b64 s[6:7], -1
	s_mov_b64 s[0:1], 0
	s_and_saveexec_b64 s[4:5], vcc
	s_cbranch_execz .LBB11_40
; %bb.32:
	s_mov_b64 s[6:7], 0
	v_mov_b32_e32 v1, 0
	v_mov_b32_e32 v0, v42
                                        ; implicit-def: $sgpr8_sgpr9
	s_branch .LBB11_34
.LBB11_33:                              ;   in Loop: Header=BB11_34 Depth=1
	s_or_b64 exec, exec, s[14:15]
	s_xor_b64 s[10:11], s[12:13], -1
	s_and_b64 s[0:1], exec, s[0:1]
	s_or_b64 s[6:7], s[0:1], s[6:7]
	s_andn2_b64 s[0:1], s[8:9], exec
	s_and_b64 s[8:9], s[10:11], exec
	s_or_b64 s[8:9], s[0:1], s[8:9]
	s_andn2_b64 exec, exec, s[6:7]
	s_cbranch_execz .LBB11_39
.LBB11_34:                              ; =>This Inner Loop Header: Depth=1
	v_lshl_add_u64 v[2:3], v[0:1], 2, s[2:3]
	global_load_dword v4, v[2:3], off
	s_waitcnt vmcnt(0)
	v_cmp_u_f32_e64 s[10:11], v4, v4
	v_cmp_o_f32_e32 vcc, v4, v4
	s_and_saveexec_b64 s[12:13], vcc
	s_cbranch_execz .LBB11_36
; %bb.35:                               ;   in Loop: Header=BB11_34 Depth=1
	global_load_dword v2, v[2:3], off offset:4
	s_andn2_b64 s[10:11], s[10:11], exec
	s_waitcnt vmcnt(0)
	v_cmp_u_f32_e32 vcc, v2, v2
	v_cmp_le_f32_e64 s[0:1], v4, v2
	s_or_b64 s[0:1], vcc, s[0:1]
	s_and_b64 s[0:1], s[0:1], exec
	s_or_b64 s[10:11], s[10:11], s[0:1]
.LBB11_36:                              ;   in Loop: Header=BB11_34 Depth=1
	s_or_b64 exec, exec, s[12:13]
	s_mov_b64 s[0:1], -1
	s_mov_b64 s[12:13], -1
	s_and_saveexec_b64 s[14:15], s[10:11]
	s_cbranch_execz .LBB11_33
; %bb.37:                               ;   in Loop: Header=BB11_34 Depth=1
	v_add_u32_e32 v0, s21, v0
	v_cmp_le_u32_e32 vcc, s16, v0
	s_xor_b64 s[12:13], exec, -1
	s_orn2_b64 s[0:1], vcc, exec
	s_branch .LBB11_33
.LBB11_38:
	s_mov_b64 s[0:1], 0
	s_and_saveexec_b64 s[2:3], s[6:7]
	s_cbranch_execnz .LBB11_41
	s_branch .LBB11_42
.LBB11_39:
	s_or_b64 exec, exec, s[6:7]
	s_mov_b64 s[0:1], exec
	s_orn2_b64 s[6:7], s[8:9], exec
.LBB11_40:
	s_or_b64 exec, exec, s[4:5]
	s_and_saveexec_b64 s[2:3], s[6:7]
	s_cbranch_execz .LBB11_42
.LBB11_41:
	s_mov_b64 s[46:47], exec
	s_barrier
	s_andn2_b64 s[0:1], s[0:1], exec
.LBB11_42:
	s_or_b64 exec, exec, s[2:3]
	s_mov_b64 s[36:37], 0
	s_mov_b64 s[34:35], 0
	s_and_saveexec_b64 s[2:3], s[0:1]
	s_xor_b64 s[38:39], exec, s[2:3]
	s_cbranch_execz .LBB11_44
; %bb.43:
	s_add_u32 s8, s22, 0x58
	s_addc_u32 s9, s23, 0
	s_getpc_b64 s[0:1]
	s_add_u32 s0, s0, .str.7@rel32@lo+4
	s_addc_u32 s1, s1, .str.7@rel32@hi+12
	s_getpc_b64 s[2:3]
	s_add_u32 s2, s2, .str.8@rel32@lo+4
	s_addc_u32 s3, s3, .str.8@rel32@hi+12
	s_getpc_b64 s[4:5]
	s_add_u32 s4, s4, __PRETTY_FUNCTION__._ZN9rocsolver6v33100L20shell_sort_ascendingIfiEEvT0_PT_PS2_@rel32@lo+4
	s_addc_u32 s5, s5, __PRETTY_FUNCTION__._ZN9rocsolver6v33100L20shell_sort_ascendingIfiEEvT0_PT_PS2_@rel32@hi+12
	s_getpc_b64 s[6:7]
	s_add_u32 s6, s6, __assert_fail@rel32@lo+4
	s_addc_u32 s7, s7, __assert_fail@rel32@hi+12
	v_mov_b32_e32 v0, s0
	v_mov_b32_e32 v1, s1
	;; [unrolled: 1-line block ×7, first 2 shown]
	s_swappc_b64 s[30:31], s[6:7]
	s_mov_b64 s[34:35], exec
.LBB11_44:
	s_or_b64 exec, exec, s[38:39]
	v_mov_b32_e32 v4, s21
	s_and_b64 vcc, exec, s[36:37]
	s_cbranch_vccz .LBB11_46
.LBB11_45:
	v_add3_u32 v42, v43, v41, v44
	v_mov_b32_e32 v4, s21
	s_or_b64 s[46:47], s[46:47], exec
.LBB11_46:
	s_and_saveexec_b64 s[36:37], s[46:47]
	s_cbranch_execz .LBB11_77
; %bb.47:
	s_cmp_lt_i32 s29, 1
	s_barrier
	s_cbranch_scc1 .LBB11_66
; %bb.48:
	s_load_dwordx2 s[4:5], s[22:23], 0x28
	s_mul_i32 s6, s45, s28
	s_mul_i32 s8, s44, s28
	s_mov_b32 s7, 0
	v_cmp_eq_u32_e64 s[0:1], 0, v42
	s_waitcnt lgkmcnt(0)
	s_ashr_i32 s3, s4, 31
	s_mov_b32 s2, s4
	s_mul_hi_u32 s4, s44, s28
	s_add_i32 s9, s4, s6
	s_lshl_b64 s[8:9], s[8:9], 2
	s_add_u32 s4, s42, s8
	s_addc_u32 s6, s43, s9
	s_lshl_b64 s[2:3], s[2:3], 2
	s_add_u32 s28, s4, s2
	s_addc_u32 s30, s6, s3
	s_cmp_lg_u64 s[26:27], 0
	v_cmp_gt_i32_e64 s[2:3], s48, v42
	s_mov_b32 s31, s5
	s_cselect_b64 s[8:9], -1, 0
	v_cmp_gt_i32_e64 s[4:5], s49, v42
	v_mov_b32_e32 v5, 0
	s_mov_b32 s6, s7
	s_branch .LBB11_50
.LBB11_49:                              ;   in Loop: Header=BB11_50 Depth=1
	s_add_i32 s6, s6, 1
	s_cmp_eq_u32 s6, s29
	s_cbranch_scc1 .LBB11_66
.LBB11_50:                              ; =>This Loop Header: Depth=1
                                        ;     Child Loop BB11_53 Depth 2
                                        ;       Child Loop BB11_57 Depth 3
                                        ;       Child Loop BB11_62 Depth 3
	s_lshl_b64 s[10:11], s[6:7], 2
	s_add_u32 s10, s24, s10
	s_addc_u32 s11, s25, s11
	s_barrier
	global_load_dword v0, v5, s[10:11]
	s_waitcnt vmcnt(0)
	v_cmp_eq_u32_e32 vcc, s6, v0
	v_readfirstlane_b32 s12, v0
	s_cbranch_vccz .LBB11_53
	s_branch .LBB11_49
.LBB11_51:                              ;   in Loop: Header=BB11_53 Depth=2
	s_or_b64 exec, exec, s[14:15]
	s_barrier
.LBB11_52:                              ;   in Loop: Header=BB11_53 Depth=2
	global_load_dword v0, v5, s[10:11]
	s_waitcnt vmcnt(0)
	v_cmp_ne_u32_e32 vcc, s6, v0
	v_readfirstlane_b32 s12, v0
	s_cbranch_vccz .LBB11_49
.LBB11_53:                              ;   Parent Loop BB11_50 Depth=1
                                        ; =>  This Loop Header: Depth=2
                                        ;       Child Loop BB11_57 Depth 3
                                        ;       Child Loop BB11_62 Depth 3
	s_ashr_i32 s13, s12, 31
	s_lshl_b64 s[14:15], s[12:13], 2
	s_add_u32 s14, s24, s14
	s_addc_u32 s15, s25, s15
	global_load_dword v0, v5, s[14:15]
	s_barrier
	s_waitcnt vmcnt(0)
	v_readfirstlane_b32 s13, v0
	s_and_saveexec_b64 s[16:17], s[0:1]
	s_cbranch_execz .LBB11_55
; %bb.54:                               ;   in Loop: Header=BB11_53 Depth=2
	v_mov_b32_e32 v0, s12
	global_store_dword v5, v0, s[14:15]
	v_mov_b32_e32 v0, s13
	global_store_dword v5, v0, s[10:11]
.LBB11_55:                              ;   in Loop: Header=BB11_53 Depth=2
	s_or_b64 exec, exec, s[16:17]
	s_barrier
	s_barrier
	s_and_saveexec_b64 s[14:15], s[2:3]
	s_cbranch_execz .LBB11_58
; %bb.56:                               ;   in Loop: Header=BB11_53 Depth=2
	s_mul_hi_i32 s17, s12, s31
	s_mul_i32 s16, s12, s31
	s_lshl_b64 s[16:17], s[16:17], 2
	s_mul_hi_i32 s19, s13, s31
	s_mul_i32 s18, s13, s31
	s_add_u32 s16, s28, s16
	s_addc_u32 s17, s30, s17
	s_lshl_b64 s[18:19], s[18:19], 2
	s_add_u32 s18, s28, s18
	s_addc_u32 s19, s30, s19
	s_mov_b64 s[20:21], 0
	v_mov_b32_e32 v0, v42
.LBB11_57:                              ;   Parent Loop BB11_50 Depth=1
                                        ;     Parent Loop BB11_53 Depth=2
                                        ; =>    This Inner Loop Header: Depth=3
	v_ashrrev_i32_e32 v1, 31, v0
	v_lshlrev_b64 v[2:3], 2, v[0:1]
	v_lshl_add_u64 v[6:7], s[16:17], 0, v[2:3]
	v_lshl_add_u64 v[2:3], s[18:19], 0, v[2:3]
	global_load_dword v1, v[2:3], off
	global_load_dword v8, v[6:7], off
	v_add_u32_e32 v0, v0, v4
	v_cmp_le_i32_e32 vcc, s48, v0
	s_or_b64 s[20:21], vcc, s[20:21]
	s_waitcnt vmcnt(1)
	global_store_dword v[6:7], v1, off
	s_waitcnt vmcnt(1)
	global_store_dword v[2:3], v8, off
	s_andn2_b64 exec, exec, s[20:21]
	s_cbranch_execnz .LBB11_57
.LBB11_58:                              ;   in Loop: Header=BB11_53 Depth=2
	s_or_b64 exec, exec, s[14:15]
	s_and_b64 vcc, exec, s[8:9]
	s_barrier
	s_cbranch_vccz .LBB11_52
; %bb.59:                               ;   in Loop: Header=BB11_53 Depth=2
	s_barrier
	s_and_saveexec_b64 s[14:15], s[4:5]
	s_cbranch_execz .LBB11_51
; %bb.60:                               ;   in Loop: Header=BB11_53 Depth=2
	s_add_i32 s20, s12, 1
	s_add_i32 s21, s13, 1
	s_mov_b64 s[12:13], 0
	v_mov_b32_e32 v0, v42
	s_branch .LBB11_62
.LBB11_61:                              ;   in Loop: Header=BB11_62 Depth=3
	s_or_b64 exec, exec, s[18:19]
	v_add_u32_e32 v0, v0, v4
	v_cmp_le_i32_e32 vcc, s49, v0
	s_or_b64 s[12:13], vcc, s[12:13]
	s_andn2_b64 exec, exec, s[12:13]
	s_cbranch_execz .LBB11_51
.LBB11_62:                              ;   Parent Loop BB11_50 Depth=1
                                        ;     Parent Loop BB11_53 Depth=2
                                        ; =>    This Inner Loop Header: Depth=3
	v_ashrrev_i32_e32 v1, 31, v0
	v_lshl_add_u64 v[2:3], v[0:1], 2, s[26:27]
	global_load_dword v1, v[2:3], off
	v_mov_b32_e32 v6, s21
	s_waitcnt vmcnt(0)
	v_cmp_eq_u32_e64 s[16:17], s20, v1
	v_cmp_ne_u32_e32 vcc, s20, v1
	s_and_saveexec_b64 s[18:19], vcc
; %bb.63:                               ;   in Loop: Header=BB11_62 Depth=3
	v_cmp_eq_u32_e32 vcc, s21, v1
	s_andn2_b64 s[16:17], s[16:17], exec
	s_and_b64 s[38:39], vcc, exec
	v_mov_b32_e32 v6, s20
	s_or_b64 s[16:17], s[16:17], s[38:39]
; %bb.64:                               ;   in Loop: Header=BB11_62 Depth=3
	s_or_b64 exec, exec, s[18:19]
	s_and_saveexec_b64 s[18:19], s[16:17]
	s_cbranch_execz .LBB11_61
; %bb.65:                               ;   in Loop: Header=BB11_62 Depth=3
	global_store_dword v[2:3], v6, off
	s_branch .LBB11_61
.LBB11_66:
	v_cmp_gt_u32_e32 vcc, s29, v42
	s_mov_b64 s[4:5], -1
	s_mov_b64 s[2:3], 0
	s_barrier
	s_and_saveexec_b64 s[0:1], vcc
	s_cbranch_execz .LBB11_72
; %bb.67:
	v_mov_b32_e32 v43, 0
                                        ; implicit-def: $sgpr4_sgpr5
                                        ; implicit-def: $sgpr8_sgpr9
                                        ; implicit-def: $sgpr6_sgpr7
	s_branch .LBB11_69
.LBB11_68:                              ;   in Loop: Header=BB11_69 Depth=1
	s_or_b64 exec, exec, s[10:11]
	s_xor_b64 s[10:11], s[6:7], -1
	s_and_b64 s[12:13], exec, s[8:9]
	s_or_b64 s[2:3], s[12:13], s[2:3]
	s_andn2_b64 s[4:5], s[4:5], exec
	s_and_b64 s[10:11], s[10:11], exec
	s_or_b64 s[4:5], s[4:5], s[10:11]
	s_andn2_b64 exec, exec, s[2:3]
	s_cbranch_execz .LBB11_71
.LBB11_69:                              ; =>This Inner Loop Header: Depth=1
	v_lshl_add_u64 v[0:1], v[42:43], 2, s[24:25]
	global_load_dword v0, v[0:1], off
	s_or_b64 s[6:7], s[6:7], exec
	s_or_b64 s[8:9], s[8:9], exec
	s_waitcnt vmcnt(0)
	v_cmp_eq_u32_e32 vcc, v42, v0
	s_and_saveexec_b64 s[10:11], vcc
	s_cbranch_execz .LBB11_68
; %bb.70:                               ;   in Loop: Header=BB11_69 Depth=1
	v_add_u32_e32 v42, v42, v4
	v_cmp_le_u32_e32 vcc, s29, v42
	s_andn2_b64 s[8:9], s[8:9], exec
	s_and_b64 s[12:13], vcc, exec
	s_andn2_b64 s[6:7], s[6:7], exec
	s_or_b64 s[8:9], s[8:9], s[12:13]
	s_branch .LBB11_68
.LBB11_71:
	s_or_b64 exec, exec, s[2:3]
	s_mov_b64 s[2:3], exec
	s_orn2_b64 s[4:5], s[4:5], exec
.LBB11_72:
	s_or_b64 exec, exec, s[0:1]
	s_and_saveexec_b64 s[0:1], s[4:5]
	s_cbranch_execz .LBB11_74
; %bb.73:
	s_andn2_b64 s[2:3], s[2:3], exec
	s_barrier
	s_barrier
.LBB11_74:
	s_or_b64 exec, exec, s[0:1]
	s_mov_b64 s[0:1], s[34:35]
	s_and_saveexec_b64 s[4:5], s[2:3]
	s_xor_b64 s[24:25], exec, s[4:5]
	s_cbranch_execz .LBB11_76
; %bb.75:
	s_add_u32 s8, s22, 0x58
	s_addc_u32 s9, s23, 0
	s_getpc_b64 s[0:1]
	s_add_u32 s0, s0, .str.10@rel32@lo+4
	s_addc_u32 s1, s1, .str.10@rel32@hi+12
	s_getpc_b64 s[2:3]
	s_add_u32 s2, s2, .str.5@rel32@lo+4
	s_addc_u32 s3, s3, .str.5@rel32@hi+12
	s_getpc_b64 s[4:5]
	s_add_u32 s4, s4, __PRETTY_FUNCTION__._ZN9rocsolver6v33100L18syevx_permute_swapIfEEviiiPiPT_iS2_@rel32@lo+4
	s_addc_u32 s5, s5, __PRETTY_FUNCTION__._ZN9rocsolver6v33100L18syevx_permute_swapIfEEviiiPiPT_iS2_@rel32@hi+12
	s_getpc_b64 s[6:7]
	s_add_u32 s6, s6, __assert_fail@rel32@lo+4
	s_addc_u32 s7, s7, __assert_fail@rel32@hi+12
	v_mov_b32_e32 v0, s0
	v_mov_b32_e32 v1, s1
	;; [unrolled: 1-line block ×7, first 2 shown]
	s_swappc_b64 s[30:31], s[6:7]
	s_or_b64 s[0:1], s[34:35], exec
.LBB11_76:
	s_or_b64 exec, exec, s[24:25]
	s_andn2_b64 s[2:3], s[34:35], exec
	s_and_b64 s[0:1], s[0:1], exec
	s_or_b64 s[34:35], s[2:3], s[0:1]
.LBB11_77:
	s_or_b64 exec, exec, s[36:37]
	s_branch .LBB11_79
.LBB11_78:
	s_add_u32 s8, s22, 0x58
	s_addc_u32 s9, s23, 0
	s_getpc_b64 s[0:1]
	s_add_u32 s0, s0, .str.6@rel32@lo+4
	s_addc_u32 s1, s1, .str.6@rel32@hi+12
	s_getpc_b64 s[2:3]
	s_add_u32 s2, s2, .str.5@rel32@lo+4
	s_addc_u32 s3, s3, .str.5@rel32@hi+12
	s_getpc_b64 s[4:5]
	s_add_u32 s4, s4, __PRETTY_FUNCTION__._ZN9rocsolver6v33100L15syevx_sort_eigsIffPfEEviPiPT0_lT1_iilS3_lS3_S3_@rel32@lo+4
	s_addc_u32 s5, s5, __PRETTY_FUNCTION__._ZN9rocsolver6v33100L15syevx_sort_eigsIffPfEEviPiPT0_lT1_iilS3_lS3_S3_@rel32@hi+12
	s_getpc_b64 s[6:7]
	s_add_u32 s6, s6, __assert_fail@rel32@lo+4
	s_addc_u32 s7, s7, __assert_fail@rel32@hi+12
	v_mov_b32_e32 v0, s0
	v_mov_b32_e32 v1, s1
	;; [unrolled: 1-line block ×7, first 2 shown]
	s_swappc_b64 s[30:31], s[6:7]
	s_or_b64 s[34:35], s[34:35], exec
.LBB11_79:
	s_branch .LBB11_4
.LBB11_80:
	s_add_u32 s8, s22, 0x58
	s_addc_u32 s9, s23, 0
	s_getpc_b64 s[0:1]
	s_add_u32 s0, s0, .str.4@rel32@lo+4
	s_addc_u32 s1, s1, .str.4@rel32@hi+12
	s_getpc_b64 s[2:3]
	s_add_u32 s2, s2, .str.5@rel32@lo+4
	s_addc_u32 s3, s3, .str.5@rel32@hi+12
	s_getpc_b64 s[4:5]
	s_add_u32 s4, s4, __PRETTY_FUNCTION__._ZN9rocsolver6v33100L15syevx_sort_eigsIffPfEEviPiPT0_lT1_iilS3_lS3_S3_@rel32@lo+4
	s_addc_u32 s5, s5, __PRETTY_FUNCTION__._ZN9rocsolver6v33100L15syevx_sort_eigsIffPfEEviPiPT0_lT1_iilS3_lS3_S3_@rel32@hi+12
	s_getpc_b64 s[6:7]
	s_add_u32 s6, s6, __assert_fail@rel32@lo+4
	s_addc_u32 s7, s7, __assert_fail@rel32@hi+12
	v_mov_b32_e32 v0, s0
	v_mov_b32_e32 v1, s1
	;; [unrolled: 1-line block ×7, first 2 shown]
	s_swappc_b64 s[30:31], s[6:7]
	s_or_b64 s[34:35], s[34:35], exec
	s_and_saveexec_b64 s[0:1], s[34:35]
	s_cbranch_execz .LBB11_5
.LBB11_81:
	; divergent unreachable
	s_endpgm
	.section	.rodata,"a",@progbits
	.p2align	6, 0x0
	.amdhsa_kernel _ZN9rocsolver6v33100L15syevx_sort_eigsIffPfEEviPiPT0_lT1_iilS3_lS3_S3_
		.amdhsa_group_segment_fixed_size 0
		.amdhsa_private_segment_fixed_size 64
		.amdhsa_kernarg_size 344
		.amdhsa_user_sgpr_count 2
		.amdhsa_user_sgpr_dispatch_ptr 0
		.amdhsa_user_sgpr_queue_ptr 0
		.amdhsa_user_sgpr_kernarg_segment_ptr 1
		.amdhsa_user_sgpr_dispatch_id 0
		.amdhsa_user_sgpr_kernarg_preload_length 0
		.amdhsa_user_sgpr_kernarg_preload_offset 0
		.amdhsa_user_sgpr_private_segment_size 0
		.amdhsa_uses_dynamic_stack 0
		.amdhsa_enable_private_segment 1
		.amdhsa_system_sgpr_workgroup_id_x 1
		.amdhsa_system_sgpr_workgroup_id_y 1
		.amdhsa_system_sgpr_workgroup_id_z 0
		.amdhsa_system_sgpr_workgroup_info 0
		.amdhsa_system_vgpr_workitem_id 2
		.amdhsa_next_free_vgpr 54
		.amdhsa_next_free_sgpr 52
		.amdhsa_accum_offset 56
		.amdhsa_reserve_vcc 1
		.amdhsa_float_round_mode_32 0
		.amdhsa_float_round_mode_16_64 0
		.amdhsa_float_denorm_mode_32 3
		.amdhsa_float_denorm_mode_16_64 3
		.amdhsa_dx10_clamp 1
		.amdhsa_ieee_mode 1
		.amdhsa_fp16_overflow 0
		.amdhsa_tg_split 0
		.amdhsa_exception_fp_ieee_invalid_op 0
		.amdhsa_exception_fp_denorm_src 0
		.amdhsa_exception_fp_ieee_div_zero 0
		.amdhsa_exception_fp_ieee_overflow 0
		.amdhsa_exception_fp_ieee_underflow 0
		.amdhsa_exception_fp_ieee_inexact 0
		.amdhsa_exception_int_div_zero 0
	.end_amdhsa_kernel
	.section	.text._ZN9rocsolver6v33100L15syevx_sort_eigsIffPfEEviPiPT0_lT1_iilS3_lS3_S3_,"axG",@progbits,_ZN9rocsolver6v33100L15syevx_sort_eigsIffPfEEviPiPT0_lT1_iilS3_lS3_S3_,comdat
.Lfunc_end11:
	.size	_ZN9rocsolver6v33100L15syevx_sort_eigsIffPfEEviPiPT0_lT1_iilS3_lS3_S3_, .Lfunc_end11-_ZN9rocsolver6v33100L15syevx_sort_eigsIffPfEEviPiPT0_lT1_iilS3_lS3_S3_
                                        ; -- End function
	.set _ZN9rocsolver6v33100L15syevx_sort_eigsIffPfEEviPiPT0_lT1_iilS3_lS3_S3_.num_vgpr, max(45, .L__assert_fail.num_vgpr)
	.set _ZN9rocsolver6v33100L15syevx_sort_eigsIffPfEEviPiPT0_lT1_iilS3_lS3_S3_.num_agpr, max(0, .L__assert_fail.num_agpr)
	.set _ZN9rocsolver6v33100L15syevx_sort_eigsIffPfEEviPiPT0_lT1_iilS3_lS3_S3_.numbered_sgpr, max(52, .L__assert_fail.numbered_sgpr)
	.set _ZN9rocsolver6v33100L15syevx_sort_eigsIffPfEEviPiPT0_lT1_iilS3_lS3_S3_.num_named_barrier, max(0, .L__assert_fail.num_named_barrier)
	.set _ZN9rocsolver6v33100L15syevx_sort_eigsIffPfEEviPiPT0_lT1_iilS3_lS3_S3_.private_seg_size, 0+max(.L__assert_fail.private_seg_size)
	.set _ZN9rocsolver6v33100L15syevx_sort_eigsIffPfEEviPiPT0_lT1_iilS3_lS3_S3_.uses_vcc, or(1, .L__assert_fail.uses_vcc)
	.set _ZN9rocsolver6v33100L15syevx_sort_eigsIffPfEEviPiPT0_lT1_iilS3_lS3_S3_.uses_flat_scratch, or(0, .L__assert_fail.uses_flat_scratch)
	.set _ZN9rocsolver6v33100L15syevx_sort_eigsIffPfEEviPiPT0_lT1_iilS3_lS3_S3_.has_dyn_sized_stack, or(0, .L__assert_fail.has_dyn_sized_stack)
	.set _ZN9rocsolver6v33100L15syevx_sort_eigsIffPfEEviPiPT0_lT1_iilS3_lS3_S3_.has_recursion, or(0, .L__assert_fail.has_recursion)
	.set _ZN9rocsolver6v33100L15syevx_sort_eigsIffPfEEviPiPT0_lT1_iilS3_lS3_S3_.has_indirect_call, or(0, .L__assert_fail.has_indirect_call)
	.section	.AMDGPU.csdata,"",@progbits
; Kernel info:
; codeLenInByte = 2596
; TotalNumSgprs: 58
; NumVgprs: 54
; NumAgprs: 0
; TotalNumVgprs: 54
; ScratchSize: 64
; MemoryBound: 0
; FloatMode: 240
; IeeeMode: 1
; LDSByteSize: 0 bytes/workgroup (compile time only)
; SGPRBlocks: 7
; VGPRBlocks: 6
; NumSGPRsForWavesPerEU: 58
; NumVGPRsForWavesPerEU: 54
; AccumOffset: 56
; Occupancy: 8
; WaveLimiterHint : 1
; COMPUTE_PGM_RSRC2:SCRATCH_EN: 1
; COMPUTE_PGM_RSRC2:USER_SGPR: 2
; COMPUTE_PGM_RSRC2:TRAP_HANDLER: 0
; COMPUTE_PGM_RSRC2:TGID_X_EN: 1
; COMPUTE_PGM_RSRC2:TGID_Y_EN: 1
; COMPUTE_PGM_RSRC2:TGID_Z_EN: 0
; COMPUTE_PGM_RSRC2:TIDIG_COMP_CNT: 2
; COMPUTE_PGM_RSRC3_GFX90A:ACCUM_OFFSET: 13
; COMPUTE_PGM_RSRC3_GFX90A:TG_SPLIT: 0
	.section	.text._ZN9rocsolver6v33100L19bdsvdx_reorder_vectIfPfEEv13rocblas_fill_iPiPT_lT0_iilS6_,"axG",@progbits,_ZN9rocsolver6v33100L19bdsvdx_reorder_vectIfPfEEv13rocblas_fill_iPiPT_lT0_iilS6_,comdat
	.globl	_ZN9rocsolver6v33100L19bdsvdx_reorder_vectIfPfEEv13rocblas_fill_iPiPT_lT0_iilS6_ ; -- Begin function _ZN9rocsolver6v33100L19bdsvdx_reorder_vectIfPfEEv13rocblas_fill_iPiPT_lT0_iilS6_
	.p2align	8
	.type	_ZN9rocsolver6v33100L19bdsvdx_reorder_vectIfPfEEv13rocblas_fill_iPiPT_lT0_iilS6_,@function
_ZN9rocsolver6v33100L19bdsvdx_reorder_vectIfPfEEv13rocblas_fill_iPiPT_lT0_iilS6_: ; @_ZN9rocsolver6v33100L19bdsvdx_reorder_vectIfPfEEv13rocblas_fill_iPiPT_lT0_iilS6_
; %bb.0:
	s_load_dwordx8 s[4:11], s[0:1], 0x8
	s_load_dwordx2 s[16:17], s[0:1], 0x0
	s_mov_b32 s2, s3
	s_ashr_i32 s3, s3, 31
	s_lshl_b64 s[12:13], s[2:3], 2
	s_waitcnt lgkmcnt(0)
	s_add_u32 s4, s4, s12
	s_addc_u32 s5, s5, s13
	s_load_dword s20, s[4:5], 0x0
	s_waitcnt lgkmcnt(0)
	s_cmp_le_i32 s20, s17
	s_cbranch_scc1 .LBB12_4
; %bb.1:
	v_cmp_eq_u32_e32 vcc, 0, v0
	s_and_saveexec_b64 s[12:13], vcc
	s_cbranch_execz .LBB12_3
; %bb.2:
	v_mov_b32_e32 v1, 0
	v_mov_b32_e32 v2, s17
	global_store_dword v1, v2, s[4:5]
.LBB12_3:
	s_or_b64 exec, exec, s[12:13]
	s_mov_b32 s20, s17
.LBB12_4:
	s_load_dwordx4 s[12:15], s[0:1], 0x30
	s_mul_i32 s4, s2, s17
	s_lshl_b32 s4, s4, 1
	s_ashr_i32 s5, s4, 31
	s_lshl_b64 s[4:5], s[4:5], 2
	s_waitcnt lgkmcnt(0)
	s_add_u32 s14, s14, s4
	s_addc_u32 s15, s15, s5
	v_cmp_gt_i32_e32 vcc, s20, v0
	s_and_saveexec_b64 s[4:5], vcc
	s_cbranch_execz .LBB12_7
; %bb.5:
	s_mul_i32 s18, s8, s3
	s_mul_hi_u32 s19, s8, s2
	s_add_i32 s18, s19, s18
	s_mul_i32 s9, s9, s2
	s_add_i32 s9, s18, s9
	s_load_dword s18, s[0:1], 0x4c
	s_mul_i32 s8, s8, s2
	s_lshl_b64 s[8:9], s[8:9], 2
	s_add_u32 s6, s6, s8
	s_addc_u32 s7, s7, s9
	s_waitcnt lgkmcnt(0)
	s_and_b32 s18, s18, 0xffff
	s_mov_b64 s[8:9], 0
	v_mov_b32_e32 v2, v0
.LBB12_6:                               ; =>This Inner Loop Header: Depth=1
	v_ashrrev_i32_e32 v3, 31, v2
	v_lshlrev_b64 v[4:5], 2, v[2:3]
	v_lshl_add_u64 v[6:7], s[14:15], 0, v[4:5]
	global_load_dword v1, v[6:7], off
	v_add_u32_e32 v2, s18, v2
	v_cmp_le_i32_e32 vcc, s20, v2
	v_lshl_add_u64 v[4:5], s[6:7], 0, v[4:5]
	s_or_b64 s[8:9], vcc, s[8:9]
	s_waitcnt vmcnt(0)
	v_xor_b32_e32 v1, 0x80000000, v1
	global_store_dword v[4:5], v1, off
	s_andn2_b64 exec, exec, s[8:9]
	s_cbranch_execnz .LBB12_6
.LBB12_7:
	s_or_b64 exec, exec, s[4:5]
	s_cmp_lt_i32 s20, 1
	s_barrier
	s_cbranch_scc1 .LBB12_23
; %bb.8:
	s_load_dwordx2 s[8:9], s[0:1], 0x28
	s_mul_i32 s3, s12, s3
	s_mul_hi_u32 s4, s12, s2
	s_add_i32 s3, s4, s3
	s_mul_i32 s6, s13, s2
	s_add_i32 s3, s3, s6
	s_mul_i32 s2, s12, s2
	s_waitcnt lgkmcnt(0)
	s_ashr_i32 s5, s8, 31
	s_lshl_b64 s[2:3], s[2:3], 2
	s_mov_b32 s4, s8
	s_add_u32 s6, s10, s2
	s_addc_u32 s7, s11, s3
	s_lshl_b64 s[2:3], s[4:5], 2
	s_add_u32 s10, s6, s2
	s_addc_u32 s11, s7, s3
	s_lshl_b32 s8, s17, 1
	s_add_u32 s0, s0, 64
	s_addc_u32 s1, s1, 0
	s_cmpk_lg_i32 s16, 0x79
	s_cselect_b64 s[4:5], -1, 0
	v_cndmask_b32_e64 v2, 0, 1, s[4:5]
	v_cmp_gt_i32_e64 s[6:7], s8, v0
	v_cmp_gt_i32_e64 s[2:3], s17, v0
	v_lshlrev_b32_e32 v1, 1, v0
	s_mov_b32 s16, 0
	v_cmp_ne_u32_e64 s[4:5], 1, v2
	s_mov_b32 s21, s17
	s_mov_b32 s22, 0
	s_branch .LBB12_11
.LBB12_9:                               ;   in Loop: Header=BB12_11 Depth=1
	s_or_b64 exec, exec, s[12:13]
.LBB12_10:                              ;   in Loop: Header=BB12_11 Depth=1
	s_add_i32 s22, s22, 1
	s_add_i32 s16, s16, s9
	s_add_i32 s21, s21, s9
	s_cmp_lg_u32 s22, s20
	s_barrier
	s_cbranch_scc0 .LBB12_23
.LBB12_11:                              ; =>This Loop Header: Depth=1
                                        ;     Child Loop BB12_13 Depth 2
                                        ;     Child Loop BB12_17 Depth 2
	;; [unrolled: 1-line block ×3, first 2 shown]
	s_and_saveexec_b64 s[12:13], s[6:7]
	s_cbranch_execz .LBB12_14
; %bb.12:                               ;   in Loop: Header=BB12_11 Depth=1
	s_load_dword s23, s[0:1], 0xc
	s_mov_b64 s[18:19], 0
	v_mov_b32_e32 v2, v0
	s_waitcnt lgkmcnt(0)
	s_and_b32 s23, s23, 0xffff
.LBB12_13:                              ;   Parent Loop BB12_11 Depth=1
                                        ; =>  This Inner Loop Header: Depth=2
	v_add_u32_e32 v4, s16, v2
	v_ashrrev_i32_e32 v5, 31, v4
	v_lshl_add_u64 v[4:5], v[4:5], 2, s[10:11]
	global_load_dword v6, v[4:5], off
	v_ashrrev_i32_e32 v3, 31, v2
	v_lshl_add_u64 v[4:5], v[2:3], 2, s[14:15]
	v_add_u32_e32 v2, s23, v2
	v_cmp_le_i32_e32 vcc, s8, v2
	s_or_b64 s[18:19], vcc, s[18:19]
	s_waitcnt vmcnt(0)
	global_store_dword v[4:5], v6, off
	s_andn2_b64 exec, exec, s[18:19]
	s_cbranch_execnz .LBB12_13
.LBB12_14:                              ;   in Loop: Header=BB12_11 Depth=1
	s_or_b64 exec, exec, s[12:13]
	s_and_b64 vcc, exec, s[4:5]
	s_mov_b64 s[12:13], -1
	s_barrier
	s_cbranch_vccnz .LBB12_19
; %bb.15:                               ;   in Loop: Header=BB12_11 Depth=1
	s_and_saveexec_b64 s[12:13], s[2:3]
	s_cbranch_execz .LBB12_18
; %bb.16:                               ;   in Loop: Header=BB12_11 Depth=1
	s_load_dword s23, s[0:1], 0xc
	s_mov_b64 s[18:19], 0
	v_mov_b32_e32 v2, v1
	v_mov_b32_e32 v4, v0
	s_waitcnt lgkmcnt(0)
	s_and_b32 s23, s23, 0xffff
	s_lshl_b32 s24, s23, 1
.LBB12_17:                              ;   Parent Loop BB12_11 Depth=1
                                        ; =>  This Inner Loop Header: Depth=2
	v_ashrrev_i32_e32 v3, 31, v2
	v_lshl_add_u64 v[6:7], v[2:3], 2, s[14:15]
	global_load_dword v3, v[6:7], off
	v_add_u32_e32 v8, s16, v4
	v_ashrrev_i32_e32 v9, 31, v8
	v_lshl_add_u64 v[8:9], v[8:9], 2, s[10:11]
	v_add_u32_e32 v2, s24, v2
	s_waitcnt vmcnt(0)
	v_mul_f32_e32 v3, 0x3fb504f3, v3
	global_store_dword v[8:9], v3, off
	global_load_dword v3, v[6:7], off offset:4
	v_add_u32_e32 v6, s21, v4
	v_add_u32_e32 v4, s23, v4
	v_ashrrev_i32_e32 v7, 31, v6
	v_cmp_le_i32_e32 vcc, s17, v4
	v_lshl_add_u64 v[6:7], v[6:7], 2, s[10:11]
	s_or_b64 s[18:19], vcc, s[18:19]
	s_waitcnt vmcnt(0)
	v_mul_f32_e32 v3, 0xbfb504f3, v3
	global_store_dword v[6:7], v3, off
	s_andn2_b64 exec, exec, s[18:19]
	s_cbranch_execnz .LBB12_17
.LBB12_18:                              ;   in Loop: Header=BB12_11 Depth=1
	s_or_b64 exec, exec, s[12:13]
	s_mov_b64 s[12:13], 0
.LBB12_19:                              ;   in Loop: Header=BB12_11 Depth=1
	s_andn2_b64 vcc, exec, s[12:13]
	s_cbranch_vccnz .LBB12_10
; %bb.20:                               ;   in Loop: Header=BB12_11 Depth=1
	s_and_saveexec_b64 s[12:13], s[2:3]
	s_cbranch_execz .LBB12_9
; %bb.21:                               ;   in Loop: Header=BB12_11 Depth=1
	s_load_dword s23, s[0:1], 0xc
	s_mov_b64 s[18:19], 0
	v_mov_b32_e32 v2, v1
	v_mov_b32_e32 v4, v0
	s_waitcnt lgkmcnt(0)
	s_and_b32 s23, s23, 0xffff
	s_lshl_b32 s24, s23, 1
.LBB12_22:                              ;   Parent Loop BB12_11 Depth=1
                                        ; =>  This Inner Loop Header: Depth=2
	v_ashrrev_i32_e32 v3, 31, v2
	v_lshl_add_u64 v[6:7], v[2:3], 2, s[14:15]
	global_load_dword v3, v[6:7], off offset:4
	v_add_u32_e32 v8, s16, v4
	v_ashrrev_i32_e32 v9, 31, v8
	v_lshl_add_u64 v[8:9], v[8:9], 2, s[10:11]
	v_add_u32_e32 v2, s24, v2
	s_waitcnt vmcnt(0)
	v_mul_f32_e32 v3, 0x3fb504f3, v3
	global_store_dword v[8:9], v3, off
	global_load_dword v3, v[6:7], off
	v_add_u32_e32 v6, s21, v4
	v_add_u32_e32 v4, s23, v4
	v_ashrrev_i32_e32 v7, 31, v6
	v_cmp_le_i32_e32 vcc, s17, v4
	v_lshl_add_u64 v[6:7], v[6:7], 2, s[10:11]
	s_or_b64 s[18:19], vcc, s[18:19]
	s_waitcnt vmcnt(0)
	v_mul_f32_e32 v3, 0xbfb504f3, v3
	global_store_dword v[6:7], v3, off
	s_andn2_b64 exec, exec, s[18:19]
	s_cbranch_execnz .LBB12_22
	s_branch .LBB12_9
.LBB12_23:
	s_endpgm
	.section	.rodata,"a",@progbits
	.p2align	6, 0x0
	.amdhsa_kernel _ZN9rocsolver6v33100L19bdsvdx_reorder_vectIfPfEEv13rocblas_fill_iPiPT_lT0_iilS6_
		.amdhsa_group_segment_fixed_size 0
		.amdhsa_private_segment_fixed_size 0
		.amdhsa_kernarg_size 320
		.amdhsa_user_sgpr_count 2
		.amdhsa_user_sgpr_dispatch_ptr 0
		.amdhsa_user_sgpr_queue_ptr 0
		.amdhsa_user_sgpr_kernarg_segment_ptr 1
		.amdhsa_user_sgpr_dispatch_id 0
		.amdhsa_user_sgpr_kernarg_preload_length 0
		.amdhsa_user_sgpr_kernarg_preload_offset 0
		.amdhsa_user_sgpr_private_segment_size 0
		.amdhsa_uses_dynamic_stack 0
		.amdhsa_enable_private_segment 0
		.amdhsa_system_sgpr_workgroup_id_x 1
		.amdhsa_system_sgpr_workgroup_id_y 1
		.amdhsa_system_sgpr_workgroup_id_z 0
		.amdhsa_system_sgpr_workgroup_info 0
		.amdhsa_system_vgpr_workitem_id 0
		.amdhsa_next_free_vgpr 10
		.amdhsa_next_free_sgpr 25
		.amdhsa_accum_offset 12
		.amdhsa_reserve_vcc 1
		.amdhsa_float_round_mode_32 0
		.amdhsa_float_round_mode_16_64 0
		.amdhsa_float_denorm_mode_32 3
		.amdhsa_float_denorm_mode_16_64 3
		.amdhsa_dx10_clamp 1
		.amdhsa_ieee_mode 1
		.amdhsa_fp16_overflow 0
		.amdhsa_tg_split 0
		.amdhsa_exception_fp_ieee_invalid_op 0
		.amdhsa_exception_fp_denorm_src 0
		.amdhsa_exception_fp_ieee_div_zero 0
		.amdhsa_exception_fp_ieee_overflow 0
		.amdhsa_exception_fp_ieee_underflow 0
		.amdhsa_exception_fp_ieee_inexact 0
		.amdhsa_exception_int_div_zero 0
	.end_amdhsa_kernel
	.section	.text._ZN9rocsolver6v33100L19bdsvdx_reorder_vectIfPfEEv13rocblas_fill_iPiPT_lT0_iilS6_,"axG",@progbits,_ZN9rocsolver6v33100L19bdsvdx_reorder_vectIfPfEEv13rocblas_fill_iPiPT_lT0_iilS6_,comdat
.Lfunc_end12:
	.size	_ZN9rocsolver6v33100L19bdsvdx_reorder_vectIfPfEEv13rocblas_fill_iPiPT_lT0_iilS6_, .Lfunc_end12-_ZN9rocsolver6v33100L19bdsvdx_reorder_vectIfPfEEv13rocblas_fill_iPiPT_lT0_iilS6_
                                        ; -- End function
	.set _ZN9rocsolver6v33100L19bdsvdx_reorder_vectIfPfEEv13rocblas_fill_iPiPT_lT0_iilS6_.num_vgpr, 10
	.set _ZN9rocsolver6v33100L19bdsvdx_reorder_vectIfPfEEv13rocblas_fill_iPiPT_lT0_iilS6_.num_agpr, 0
	.set _ZN9rocsolver6v33100L19bdsvdx_reorder_vectIfPfEEv13rocblas_fill_iPiPT_lT0_iilS6_.numbered_sgpr, 25
	.set _ZN9rocsolver6v33100L19bdsvdx_reorder_vectIfPfEEv13rocblas_fill_iPiPT_lT0_iilS6_.num_named_barrier, 0
	.set _ZN9rocsolver6v33100L19bdsvdx_reorder_vectIfPfEEv13rocblas_fill_iPiPT_lT0_iilS6_.private_seg_size, 0
	.set _ZN9rocsolver6v33100L19bdsvdx_reorder_vectIfPfEEv13rocblas_fill_iPiPT_lT0_iilS6_.uses_vcc, 1
	.set _ZN9rocsolver6v33100L19bdsvdx_reorder_vectIfPfEEv13rocblas_fill_iPiPT_lT0_iilS6_.uses_flat_scratch, 0
	.set _ZN9rocsolver6v33100L19bdsvdx_reorder_vectIfPfEEv13rocblas_fill_iPiPT_lT0_iilS6_.has_dyn_sized_stack, 0
	.set _ZN9rocsolver6v33100L19bdsvdx_reorder_vectIfPfEEv13rocblas_fill_iPiPT_lT0_iilS6_.has_recursion, 0
	.set _ZN9rocsolver6v33100L19bdsvdx_reorder_vectIfPfEEv13rocblas_fill_iPiPT_lT0_iilS6_.has_indirect_call, 0
	.section	.AMDGPU.csdata,"",@progbits
; Kernel info:
; codeLenInByte = 952
; TotalNumSgprs: 31
; NumVgprs: 10
; NumAgprs: 0
; TotalNumVgprs: 10
; ScratchSize: 0
; MemoryBound: 0
; FloatMode: 240
; IeeeMode: 1
; LDSByteSize: 0 bytes/workgroup (compile time only)
; SGPRBlocks: 3
; VGPRBlocks: 1
; NumSGPRsForWavesPerEU: 31
; NumVGPRsForWavesPerEU: 10
; AccumOffset: 12
; Occupancy: 8
; WaveLimiterHint : 0
; COMPUTE_PGM_RSRC2:SCRATCH_EN: 0
; COMPUTE_PGM_RSRC2:USER_SGPR: 2
; COMPUTE_PGM_RSRC2:TRAP_HANDLER: 0
; COMPUTE_PGM_RSRC2:TGID_X_EN: 1
; COMPUTE_PGM_RSRC2:TGID_Y_EN: 1
; COMPUTE_PGM_RSRC2:TGID_Z_EN: 0
; COMPUTE_PGM_RSRC2:TIDIG_COMP_CNT: 0
; COMPUTE_PGM_RSRC3_GFX90A:ACCUM_OFFSET: 2
; COMPUTE_PGM_RSRC3_GFX90A:TG_SPLIT: 0
	.section	.text._ZN9rocsolver6v33100L10reset_infoIdiiEEvPT_T0_T1_S4_,"axG",@progbits,_ZN9rocsolver6v33100L10reset_infoIdiiEEvPT_T0_T1_S4_,comdat
	.globl	_ZN9rocsolver6v33100L10reset_infoIdiiEEvPT_T0_T1_S4_ ; -- Begin function _ZN9rocsolver6v33100L10reset_infoIdiiEEvPT_T0_T1_S4_
	.p2align	8
	.type	_ZN9rocsolver6v33100L10reset_infoIdiiEEvPT_T0_T1_S4_,@function
_ZN9rocsolver6v33100L10reset_infoIdiiEEvPT_T0_T1_S4_: ; @_ZN9rocsolver6v33100L10reset_infoIdiiEEvPT_T0_T1_S4_
; %bb.0:
	s_load_dword s3, s[0:1], 0x24
	s_load_dwordx4 s[4:7], s[0:1], 0x8
	s_waitcnt lgkmcnt(0)
	s_and_b32 s3, s3, 0xffff
	s_mul_i32 s2, s2, s3
	v_add_u32_e32 v0, s2, v0
	v_cmp_gt_i32_e32 vcc, s4, v0
	s_and_saveexec_b64 s[2:3], vcc
	s_cbranch_execz .LBB13_2
; %bb.1:
	s_load_dwordx2 s[0:1], s[0:1], 0x0
	v_mul_lo_u32 v1, v0, s6
	v_cvt_f64_i32_e32 v[2:3], s5
	v_cvt_f64_i32_e32 v[4:5], v1
	v_ashrrev_i32_e32 v1, 31, v0
	v_add_f64 v[2:3], v[2:3], v[4:5]
	s_waitcnt lgkmcnt(0)
	v_lshl_add_u64 v[0:1], v[0:1], 3, s[0:1]
	global_store_dwordx2 v[0:1], v[2:3], off
.LBB13_2:
	s_endpgm
	.section	.rodata,"a",@progbits
	.p2align	6, 0x0
	.amdhsa_kernel _ZN9rocsolver6v33100L10reset_infoIdiiEEvPT_T0_T1_S4_
		.amdhsa_group_segment_fixed_size 0
		.amdhsa_private_segment_fixed_size 0
		.amdhsa_kernarg_size 280
		.amdhsa_user_sgpr_count 2
		.amdhsa_user_sgpr_dispatch_ptr 0
		.amdhsa_user_sgpr_queue_ptr 0
		.amdhsa_user_sgpr_kernarg_segment_ptr 1
		.amdhsa_user_sgpr_dispatch_id 0
		.amdhsa_user_sgpr_kernarg_preload_length 0
		.amdhsa_user_sgpr_kernarg_preload_offset 0
		.amdhsa_user_sgpr_private_segment_size 0
		.amdhsa_uses_dynamic_stack 0
		.amdhsa_enable_private_segment 0
		.amdhsa_system_sgpr_workgroup_id_x 1
		.amdhsa_system_sgpr_workgroup_id_y 0
		.amdhsa_system_sgpr_workgroup_id_z 0
		.amdhsa_system_sgpr_workgroup_info 0
		.amdhsa_system_vgpr_workitem_id 0
		.amdhsa_next_free_vgpr 6
		.amdhsa_next_free_sgpr 8
		.amdhsa_accum_offset 8
		.amdhsa_reserve_vcc 1
		.amdhsa_float_round_mode_32 0
		.amdhsa_float_round_mode_16_64 0
		.amdhsa_float_denorm_mode_32 3
		.amdhsa_float_denorm_mode_16_64 3
		.amdhsa_dx10_clamp 1
		.amdhsa_ieee_mode 1
		.amdhsa_fp16_overflow 0
		.amdhsa_tg_split 0
		.amdhsa_exception_fp_ieee_invalid_op 0
		.amdhsa_exception_fp_denorm_src 0
		.amdhsa_exception_fp_ieee_div_zero 0
		.amdhsa_exception_fp_ieee_overflow 0
		.amdhsa_exception_fp_ieee_underflow 0
		.amdhsa_exception_fp_ieee_inexact 0
		.amdhsa_exception_int_div_zero 0
	.end_amdhsa_kernel
	.section	.text._ZN9rocsolver6v33100L10reset_infoIdiiEEvPT_T0_T1_S4_,"axG",@progbits,_ZN9rocsolver6v33100L10reset_infoIdiiEEvPT_T0_T1_S4_,comdat
.Lfunc_end13:
	.size	_ZN9rocsolver6v33100L10reset_infoIdiiEEvPT_T0_T1_S4_, .Lfunc_end13-_ZN9rocsolver6v33100L10reset_infoIdiiEEvPT_T0_T1_S4_
                                        ; -- End function
	.set _ZN9rocsolver6v33100L10reset_infoIdiiEEvPT_T0_T1_S4_.num_vgpr, 6
	.set _ZN9rocsolver6v33100L10reset_infoIdiiEEvPT_T0_T1_S4_.num_agpr, 0
	.set _ZN9rocsolver6v33100L10reset_infoIdiiEEvPT_T0_T1_S4_.numbered_sgpr, 8
	.set _ZN9rocsolver6v33100L10reset_infoIdiiEEvPT_T0_T1_S4_.num_named_barrier, 0
	.set _ZN9rocsolver6v33100L10reset_infoIdiiEEvPT_T0_T1_S4_.private_seg_size, 0
	.set _ZN9rocsolver6v33100L10reset_infoIdiiEEvPT_T0_T1_S4_.uses_vcc, 1
	.set _ZN9rocsolver6v33100L10reset_infoIdiiEEvPT_T0_T1_S4_.uses_flat_scratch, 0
	.set _ZN9rocsolver6v33100L10reset_infoIdiiEEvPT_T0_T1_S4_.has_dyn_sized_stack, 0
	.set _ZN9rocsolver6v33100L10reset_infoIdiiEEvPT_T0_T1_S4_.has_recursion, 0
	.set _ZN9rocsolver6v33100L10reset_infoIdiiEEvPT_T0_T1_S4_.has_indirect_call, 0
	.section	.AMDGPU.csdata,"",@progbits
; Kernel info:
; codeLenInByte = 108
; TotalNumSgprs: 14
; NumVgprs: 6
; NumAgprs: 0
; TotalNumVgprs: 6
; ScratchSize: 0
; MemoryBound: 0
; FloatMode: 240
; IeeeMode: 1
; LDSByteSize: 0 bytes/workgroup (compile time only)
; SGPRBlocks: 1
; VGPRBlocks: 0
; NumSGPRsForWavesPerEU: 14
; NumVGPRsForWavesPerEU: 6
; AccumOffset: 8
; Occupancy: 8
; WaveLimiterHint : 0
; COMPUTE_PGM_RSRC2:SCRATCH_EN: 0
; COMPUTE_PGM_RSRC2:USER_SGPR: 2
; COMPUTE_PGM_RSRC2:TRAP_HANDLER: 0
; COMPUTE_PGM_RSRC2:TGID_X_EN: 1
; COMPUTE_PGM_RSRC2:TGID_Y_EN: 0
; COMPUTE_PGM_RSRC2:TGID_Z_EN: 0
; COMPUTE_PGM_RSRC2:TIDIG_COMP_CNT: 0
; COMPUTE_PGM_RSRC3_GFX90A:ACCUM_OFFSET: 1
; COMPUTE_PGM_RSRC3_GFX90A:TG_SPLIT: 0
	.section	.text._ZN9rocsolver6v33100L8copy_matIdPdS2_NS0_7no_maskEEEviiT0_iilT1_iilT2_13rocblas_fill_17rocblas_diagonal_,"axG",@progbits,_ZN9rocsolver6v33100L8copy_matIdPdS2_NS0_7no_maskEEEviiT0_iilT1_iilT2_13rocblas_fill_17rocblas_diagonal_,comdat
	.globl	_ZN9rocsolver6v33100L8copy_matIdPdS2_NS0_7no_maskEEEviiT0_iilT1_iilT2_13rocblas_fill_17rocblas_diagonal_ ; -- Begin function _ZN9rocsolver6v33100L8copy_matIdPdS2_NS0_7no_maskEEEviiT0_iilT1_iilT2_13rocblas_fill_17rocblas_diagonal_
	.p2align	8
	.type	_ZN9rocsolver6v33100L8copy_matIdPdS2_NS0_7no_maskEEEviiT0_iilT1_iilT2_13rocblas_fill_17rocblas_diagonal_,@function
_ZN9rocsolver6v33100L8copy_matIdPdS2_NS0_7no_maskEEEviiT0_iilT1_iilT2_13rocblas_fill_17rocblas_diagonal_: ; @_ZN9rocsolver6v33100L8copy_matIdPdS2_NS0_7no_maskEEEviiT0_iilT1_iilT2_13rocblas_fill_17rocblas_diagonal_
; %bb.0:
	s_load_dword s5, s[0:1], 0x54
	s_load_dwordx2 s[6:7], s[0:1], 0x0
	v_bfe_u32 v1, v0, 10, 10
	v_and_b32_e32 v0, 0x3ff, v0
	s_waitcnt lgkmcnt(0)
	s_lshr_b32 s8, s5, 16
	s_mul_i32 s3, s3, s8
	v_add_u32_e32 v1, s3, v1
	s_and_b32 s3, s5, 0xffff
	s_mul_i32 s2, s2, s3
	v_add_u32_e32 v0, s2, v0
	v_cmp_gt_u32_e32 vcc, s6, v0
	v_cmp_gt_u32_e64 s[2:3], s7, v1
	s_and_b64 s[2:3], s[2:3], vcc
	s_and_saveexec_b64 s[6:7], s[2:3]
	s_cbranch_execz .LBB14_14
; %bb.1:
	s_load_dwordx2 s[6:7], s[0:1], 0x3c
	s_waitcnt lgkmcnt(0)
	s_cmpk_lt_i32 s6, 0x7a
	s_cbranch_scc1 .LBB14_4
; %bb.2:
	s_cmpk_gt_i32 s6, 0x7a
	s_cbranch_scc0 .LBB14_5
; %bb.3:
	s_cmpk_lg_i32 s6, 0x7b
	s_mov_b64 s[8:9], -1
	s_cselect_b64 s[10:11], -1, 0
	s_cbranch_execz .LBB14_6
	s_branch .LBB14_7
.LBB14_4:
	s_mov_b64 s[10:11], 0
	s_mov_b64 s[8:9], 0
	s_cbranch_execnz .LBB14_8
	s_branch .LBB14_10
.LBB14_5:
	s_mov_b64 s[8:9], 0
	s_mov_b64 s[10:11], 0
.LBB14_6:
	v_cmp_gt_u32_e32 vcc, v0, v1
	v_cmp_le_u32_e64 s[2:3], v0, v1
	s_andn2_b64 s[8:9], s[8:9], exec
	s_and_b64 s[12:13], vcc, exec
	s_andn2_b64 s[10:11], s[10:11], exec
	s_and_b64 s[2:3], s[2:3], exec
	s_or_b64 s[8:9], s[8:9], s[12:13]
	s_or_b64 s[10:11], s[10:11], s[2:3]
.LBB14_7:
	s_branch .LBB14_10
.LBB14_8:
	s_cmpk_eq_i32 s6, 0x79
	s_mov_b64 s[10:11], -1
	s_cbranch_scc0 .LBB14_10
; %bb.9:
	v_cmp_gt_u32_e32 vcc, v1, v0
	v_cmp_le_u32_e64 s[2:3], v1, v0
	s_andn2_b64 s[8:9], s[8:9], exec
	s_and_b64 s[10:11], vcc, exec
	s_or_b64 s[8:9], s[8:9], s[10:11]
	s_orn2_b64 s[10:11], s[2:3], exec
.LBB14_10:
	s_and_saveexec_b64 s[2:3], s[10:11]
; %bb.11:
	s_cmpk_eq_i32 s7, 0x83
	s_cselect_b64 s[6:7], -1, 0
	v_cmp_eq_u32_e32 vcc, v0, v1
	s_and_b64 s[6:7], s[6:7], vcc
	s_andn2_b64 s[8:9], s[8:9], exec
	s_and_b64 s[6:7], s[6:7], exec
	s_or_b64 s[8:9], s[8:9], s[6:7]
; %bb.12:
	s_or_b64 exec, exec, s[2:3]
	s_and_b64 exec, exec, s[8:9]
	s_cbranch_execz .LBB14_14
; %bb.13:
	s_load_dwordx8 s[8:15], s[0:1], 0x8
	s_waitcnt lgkmcnt(0)
	s_mul_i32 s5, s13, s4
	s_mul_hi_u32 s7, s12, s4
	s_mul_i32 s6, s12, s4
	s_add_i32 s7, s7, s5
	s_ashr_i32 s3, s10, 31
	s_lshl_b64 s[6:7], s[6:7], 3
	s_mov_b32 s2, s10
	s_add_u32 s5, s8, s6
	s_addc_u32 s6, s9, s7
	s_lshl_b64 s[2:3], s[2:3], 3
	s_add_u32 s2, s5, s2
	s_addc_u32 s3, s6, s3
	v_mad_u64_u32 v[2:3], s[6:7], v1, s11, v[0:1]
	v_mov_b32_e32 v3, 0
	v_lshl_add_u64 v[4:5], v[2:3], 3, s[2:3]
	global_load_dwordx2 v[4:5], v[4:5], off
	s_load_dwordx4 s[8:11], s[0:1], 0x28
	s_waitcnt lgkmcnt(0)
	s_mul_i32 s2, s11, s4
	s_mul_hi_u32 s3, s10, s4
	s_add_i32 s3, s3, s2
	s_mul_i32 s2, s10, s4
	s_ashr_i32 s1, s8, 31
	s_lshl_b64 s[2:3], s[2:3], 3
	s_mov_b32 s0, s8
	s_add_u32 s2, s14, s2
	s_addc_u32 s3, s15, s3
	s_lshl_b64 s[0:1], s[0:1], 3
	s_add_u32 s0, s2, s0
	s_addc_u32 s1, s3, s1
	v_mad_u64_u32 v[0:1], s[2:3], v1, s9, v[0:1]
	v_mov_b32_e32 v1, v3
	v_lshl_add_u64 v[0:1], v[0:1], 3, s[0:1]
	s_waitcnt vmcnt(0)
	global_store_dwordx2 v[0:1], v[4:5], off
.LBB14_14:
	s_endpgm
	.section	.rodata,"a",@progbits
	.p2align	6, 0x0
	.amdhsa_kernel _ZN9rocsolver6v33100L8copy_matIdPdS2_NS0_7no_maskEEEviiT0_iilT1_iilT2_13rocblas_fill_17rocblas_diagonal_
		.amdhsa_group_segment_fixed_size 0
		.amdhsa_private_segment_fixed_size 0
		.amdhsa_kernarg_size 328
		.amdhsa_user_sgpr_count 2
		.amdhsa_user_sgpr_dispatch_ptr 0
		.amdhsa_user_sgpr_queue_ptr 0
		.amdhsa_user_sgpr_kernarg_segment_ptr 1
		.amdhsa_user_sgpr_dispatch_id 0
		.amdhsa_user_sgpr_kernarg_preload_length 0
		.amdhsa_user_sgpr_kernarg_preload_offset 0
		.amdhsa_user_sgpr_private_segment_size 0
		.amdhsa_uses_dynamic_stack 0
		.amdhsa_enable_private_segment 0
		.amdhsa_system_sgpr_workgroup_id_x 1
		.amdhsa_system_sgpr_workgroup_id_y 1
		.amdhsa_system_sgpr_workgroup_id_z 1
		.amdhsa_system_sgpr_workgroup_info 0
		.amdhsa_system_vgpr_workitem_id 1
		.amdhsa_next_free_vgpr 6
		.amdhsa_next_free_sgpr 16
		.amdhsa_accum_offset 8
		.amdhsa_reserve_vcc 1
		.amdhsa_float_round_mode_32 0
		.amdhsa_float_round_mode_16_64 0
		.amdhsa_float_denorm_mode_32 3
		.amdhsa_float_denorm_mode_16_64 3
		.amdhsa_dx10_clamp 1
		.amdhsa_ieee_mode 1
		.amdhsa_fp16_overflow 0
		.amdhsa_tg_split 0
		.amdhsa_exception_fp_ieee_invalid_op 0
		.amdhsa_exception_fp_denorm_src 0
		.amdhsa_exception_fp_ieee_div_zero 0
		.amdhsa_exception_fp_ieee_overflow 0
		.amdhsa_exception_fp_ieee_underflow 0
		.amdhsa_exception_fp_ieee_inexact 0
		.amdhsa_exception_int_div_zero 0
	.end_amdhsa_kernel
	.section	.text._ZN9rocsolver6v33100L8copy_matIdPdS2_NS0_7no_maskEEEviiT0_iilT1_iilT2_13rocblas_fill_17rocblas_diagonal_,"axG",@progbits,_ZN9rocsolver6v33100L8copy_matIdPdS2_NS0_7no_maskEEEviiT0_iilT1_iilT2_13rocblas_fill_17rocblas_diagonal_,comdat
.Lfunc_end14:
	.size	_ZN9rocsolver6v33100L8copy_matIdPdS2_NS0_7no_maskEEEviiT0_iilT1_iilT2_13rocblas_fill_17rocblas_diagonal_, .Lfunc_end14-_ZN9rocsolver6v33100L8copy_matIdPdS2_NS0_7no_maskEEEviiT0_iilT1_iilT2_13rocblas_fill_17rocblas_diagonal_
                                        ; -- End function
	.set _ZN9rocsolver6v33100L8copy_matIdPdS2_NS0_7no_maskEEEviiT0_iilT1_iilT2_13rocblas_fill_17rocblas_diagonal_.num_vgpr, 6
	.set _ZN9rocsolver6v33100L8copy_matIdPdS2_NS0_7no_maskEEEviiT0_iilT1_iilT2_13rocblas_fill_17rocblas_diagonal_.num_agpr, 0
	.set _ZN9rocsolver6v33100L8copy_matIdPdS2_NS0_7no_maskEEEviiT0_iilT1_iilT2_13rocblas_fill_17rocblas_diagonal_.numbered_sgpr, 16
	.set _ZN9rocsolver6v33100L8copy_matIdPdS2_NS0_7no_maskEEEviiT0_iilT1_iilT2_13rocblas_fill_17rocblas_diagonal_.num_named_barrier, 0
	.set _ZN9rocsolver6v33100L8copy_matIdPdS2_NS0_7no_maskEEEviiT0_iilT1_iilT2_13rocblas_fill_17rocblas_diagonal_.private_seg_size, 0
	.set _ZN9rocsolver6v33100L8copy_matIdPdS2_NS0_7no_maskEEEviiT0_iilT1_iilT2_13rocblas_fill_17rocblas_diagonal_.uses_vcc, 1
	.set _ZN9rocsolver6v33100L8copy_matIdPdS2_NS0_7no_maskEEEviiT0_iilT1_iilT2_13rocblas_fill_17rocblas_diagonal_.uses_flat_scratch, 0
	.set _ZN9rocsolver6v33100L8copy_matIdPdS2_NS0_7no_maskEEEviiT0_iilT1_iilT2_13rocblas_fill_17rocblas_diagonal_.has_dyn_sized_stack, 0
	.set _ZN9rocsolver6v33100L8copy_matIdPdS2_NS0_7no_maskEEEviiT0_iilT1_iilT2_13rocblas_fill_17rocblas_diagonal_.has_recursion, 0
	.set _ZN9rocsolver6v33100L8copy_matIdPdS2_NS0_7no_maskEEEviiT0_iilT1_iilT2_13rocblas_fill_17rocblas_diagonal_.has_indirect_call, 0
	.section	.AMDGPU.csdata,"",@progbits
; Kernel info:
; codeLenInByte = 468
; TotalNumSgprs: 22
; NumVgprs: 6
; NumAgprs: 0
; TotalNumVgprs: 6
; ScratchSize: 0
; MemoryBound: 0
; FloatMode: 240
; IeeeMode: 1
; LDSByteSize: 0 bytes/workgroup (compile time only)
; SGPRBlocks: 2
; VGPRBlocks: 0
; NumSGPRsForWavesPerEU: 22
; NumVGPRsForWavesPerEU: 6
; AccumOffset: 8
; Occupancy: 8
; WaveLimiterHint : 0
; COMPUTE_PGM_RSRC2:SCRATCH_EN: 0
; COMPUTE_PGM_RSRC2:USER_SGPR: 2
; COMPUTE_PGM_RSRC2:TRAP_HANDLER: 0
; COMPUTE_PGM_RSRC2:TGID_X_EN: 1
; COMPUTE_PGM_RSRC2:TGID_Y_EN: 1
; COMPUTE_PGM_RSRC2:TGID_Z_EN: 1
; COMPUTE_PGM_RSRC2:TIDIG_COMP_CNT: 1
; COMPUTE_PGM_RSRC3_GFX90A:ACCUM_OFFSET: 1
; COMPUTE_PGM_RSRC3_GFX90A:TG_SPLIT: 0
	.section	.text._ZN9rocsolver6v33100L18stebz_case1_kernelIdPdEEv15rocblas_erange_T_S4_T0_ilPiS6_PS4_lS6_lS6_li,"axG",@progbits,_ZN9rocsolver6v33100L18stebz_case1_kernelIdPdEEv15rocblas_erange_T_S4_T0_ilPiS6_PS4_lS6_lS6_li,comdat
	.globl	_ZN9rocsolver6v33100L18stebz_case1_kernelIdPdEEv15rocblas_erange_T_S4_T0_ilPiS6_PS4_lS6_lS6_li ; -- Begin function _ZN9rocsolver6v33100L18stebz_case1_kernelIdPdEEv15rocblas_erange_T_S4_T0_ilPiS6_PS4_lS6_lS6_li
	.p2align	8
	.type	_ZN9rocsolver6v33100L18stebz_case1_kernelIdPdEEv15rocblas_erange_T_S4_T0_ilPiS6_PS4_lS6_lS6_li,@function
_ZN9rocsolver6v33100L18stebz_case1_kernelIdPdEEv15rocblas_erange_T_S4_T0_ilPiS6_PS4_lS6_lS6_li: ; @_ZN9rocsolver6v33100L18stebz_case1_kernelIdPdEEv15rocblas_erange_T_S4_T0_ilPiS6_PS4_lS6_lS6_li
; %bb.0:
	s_load_dword s3, s[0:1], 0x84
	s_load_dword s4, s[0:1], 0x70
	s_waitcnt lgkmcnt(0)
	s_and_b32 s3, s3, 0xffff
	s_mul_i32 s2, s2, s3
	v_add_u32_e32 v0, s2, v0
	v_cmp_gt_i32_e32 vcc, s4, v0
	s_and_saveexec_b64 s[2:3], vcc
	s_cbranch_execz .LBB15_7
; %bb.1:
	s_load_dword s2, s[0:1], 0x20
	s_load_dwordx16 s[4:19], s[0:1], 0x28
	s_load_dwordx2 s[20:21], s[0:1], 0x18
	v_ashrrev_i32_e32 v1, 31, v0
	s_waitcnt lgkmcnt(0)
	s_ashr_i32 s3, s2, 31
	v_mul_lo_u32 v4, s5, v0
	v_mul_lo_u32 v5, s4, v1
	v_mad_u64_u32 v[2:3], s[4:5], s4, v0, 0
	v_add3_u32 v3, v3, v5, v4
	v_lshl_add_u64 v[2:3], v[2:3], 3, s[20:21]
	v_lshl_add_u64 v[2:3], s[2:3], 3, v[2:3]
	global_load_dwordx2 v[2:3], v[2:3], off
	s_load_dword s4, s[0:1], 0x0
	s_load_dwordx2 s[2:3], s[0:1], 0x68
	v_mov_b32_e32 v4, s8
	v_mov_b32_e32 v5, s9
	;; [unrolled: 1-line block ×3, first 2 shown]
	s_waitcnt lgkmcnt(0)
	s_cmpk_lg_i32 s4, 0xe8
	v_mul_lo_u32 v10, s3, v0
	v_mul_lo_u32 v11, s2, v1
	v_mad_u64_u32 v[8:9], s[2:3], s2, v0, 0
	v_mov_b32_e32 v7, s19
	v_add3_u32 v9, v9, v11, v10
	s_cselect_b64 s[4:5], -1, 0
	v_lshl_add_u64 v[6:7], v[8:9], 2, v[6:7]
	v_lshl_add_u64 v[4:5], v[0:1], 2, v[4:5]
	v_mov_b32_e32 v8, 1
	s_and_b64 vcc, exec, s[4:5]
	global_store_dword v[4:5], v8, off
	global_store_dword v[6:7], v8, off
	s_cbranch_vccnz .LBB15_3
; %bb.2:
	s_load_dwordx4 s[20:23], s[0:1], 0x8
	s_andn2_b64 s[4:5], s[4:5], exec
	s_mov_b64 s[2:3], -1
	s_waitcnt vmcnt(2) lgkmcnt(0)
	v_cmp_nge_f64_e32 vcc, s[20:21], v[2:3]
	v_cmp_nlt_f64_e64 s[0:1], s[22:23], v[2:3]
	s_and_b64 s[0:1], vcc, s[0:1]
	s_and_b64 s[0:1], s[0:1], exec
	s_or_b64 s[4:5], s[4:5], s[0:1]
	v_lshl_add_u64 v[4:5], v[0:1], 2, s[6:7]
	s_and_saveexec_b64 s[0:1], s[4:5]
	s_xor_b64 s[0:1], exec, s[0:1]
	s_cbranch_execnz .LBB15_4
	s_branch .LBB15_5
.LBB15_3:
	s_mov_b64 s[2:3], 0
	v_lshl_add_u64 v[4:5], v[0:1], 2, s[6:7]
	s_and_saveexec_b64 s[0:1], s[4:5]
	s_xor_b64 s[0:1], exec, s[0:1]
	s_cbranch_execz .LBB15_5
.LBB15_4:
	v_mul_lo_u32 v12, s13, v0
	v_mul_lo_u32 v13, s12, v1
	v_mad_u64_u32 v[10:11], s[4:5], s12, v0, 0
	v_mov_b32_e32 v6, s10
	v_mov_b32_e32 v7, s11
	v_add3_u32 v11, v11, v13, v12
	v_lshl_add_u64 v[6:7], v[10:11], 3, v[6:7]
	v_mul_lo_u32 v10, s17, v0
	v_mul_lo_u32 v11, s16, v1
	v_mad_u64_u32 v[0:1], s[4:5], s16, v0, 0
	v_mov_b32_e32 v8, s14
	v_mov_b32_e32 v9, s15
	v_add3_u32 v1, v1, v11, v10
	v_lshl_add_u64 v[0:1], v[0:1], 2, v[8:9]
	v_mov_b32_e32 v8, 1
	global_store_dword v[4:5], v8, off
	s_waitcnt vmcnt(3)
	global_store_dwordx2 v[6:7], v[2:3], off
	global_store_dword v[0:1], v8, off
	s_andn2_b64 s[2:3], s[2:3], exec
.LBB15_5:
	s_or_b64 exec, exec, s[0:1]
	s_and_b64 exec, exec, s[2:3]
	s_cbranch_execz .LBB15_7
; %bb.6:
	v_mov_b32_e32 v0, 0
	global_store_dword v[4:5], v0, off
.LBB15_7:
	s_endpgm
	.section	.rodata,"a",@progbits
	.p2align	6, 0x0
	.amdhsa_kernel _ZN9rocsolver6v33100L18stebz_case1_kernelIdPdEEv15rocblas_erange_T_S4_T0_ilPiS6_PS4_lS6_lS6_li
		.amdhsa_group_segment_fixed_size 0
		.amdhsa_private_segment_fixed_size 0
		.amdhsa_kernarg_size 376
		.amdhsa_user_sgpr_count 2
		.amdhsa_user_sgpr_dispatch_ptr 0
		.amdhsa_user_sgpr_queue_ptr 0
		.amdhsa_user_sgpr_kernarg_segment_ptr 1
		.amdhsa_user_sgpr_dispatch_id 0
		.amdhsa_user_sgpr_kernarg_preload_length 0
		.amdhsa_user_sgpr_kernarg_preload_offset 0
		.amdhsa_user_sgpr_private_segment_size 0
		.amdhsa_uses_dynamic_stack 0
		.amdhsa_enable_private_segment 0
		.amdhsa_system_sgpr_workgroup_id_x 1
		.amdhsa_system_sgpr_workgroup_id_y 0
		.amdhsa_system_sgpr_workgroup_id_z 0
		.amdhsa_system_sgpr_workgroup_info 0
		.amdhsa_system_vgpr_workitem_id 0
		.amdhsa_next_free_vgpr 14
		.amdhsa_next_free_sgpr 24
		.amdhsa_accum_offset 16
		.amdhsa_reserve_vcc 1
		.amdhsa_float_round_mode_32 0
		.amdhsa_float_round_mode_16_64 0
		.amdhsa_float_denorm_mode_32 3
		.amdhsa_float_denorm_mode_16_64 3
		.amdhsa_dx10_clamp 1
		.amdhsa_ieee_mode 1
		.amdhsa_fp16_overflow 0
		.amdhsa_tg_split 0
		.amdhsa_exception_fp_ieee_invalid_op 0
		.amdhsa_exception_fp_denorm_src 0
		.amdhsa_exception_fp_ieee_div_zero 0
		.amdhsa_exception_fp_ieee_overflow 0
		.amdhsa_exception_fp_ieee_underflow 0
		.amdhsa_exception_fp_ieee_inexact 0
		.amdhsa_exception_int_div_zero 0
	.end_amdhsa_kernel
	.section	.text._ZN9rocsolver6v33100L18stebz_case1_kernelIdPdEEv15rocblas_erange_T_S4_T0_ilPiS6_PS4_lS6_lS6_li,"axG",@progbits,_ZN9rocsolver6v33100L18stebz_case1_kernelIdPdEEv15rocblas_erange_T_S4_T0_ilPiS6_PS4_lS6_lS6_li,comdat
.Lfunc_end15:
	.size	_ZN9rocsolver6v33100L18stebz_case1_kernelIdPdEEv15rocblas_erange_T_S4_T0_ilPiS6_PS4_lS6_lS6_li, .Lfunc_end15-_ZN9rocsolver6v33100L18stebz_case1_kernelIdPdEEv15rocblas_erange_T_S4_T0_ilPiS6_PS4_lS6_lS6_li
                                        ; -- End function
	.set _ZN9rocsolver6v33100L18stebz_case1_kernelIdPdEEv15rocblas_erange_T_S4_T0_ilPiS6_PS4_lS6_lS6_li.num_vgpr, 14
	.set _ZN9rocsolver6v33100L18stebz_case1_kernelIdPdEEv15rocblas_erange_T_S4_T0_ilPiS6_PS4_lS6_lS6_li.num_agpr, 0
	.set _ZN9rocsolver6v33100L18stebz_case1_kernelIdPdEEv15rocblas_erange_T_S4_T0_ilPiS6_PS4_lS6_lS6_li.numbered_sgpr, 24
	.set _ZN9rocsolver6v33100L18stebz_case1_kernelIdPdEEv15rocblas_erange_T_S4_T0_ilPiS6_PS4_lS6_lS6_li.num_named_barrier, 0
	.set _ZN9rocsolver6v33100L18stebz_case1_kernelIdPdEEv15rocblas_erange_T_S4_T0_ilPiS6_PS4_lS6_lS6_li.private_seg_size, 0
	.set _ZN9rocsolver6v33100L18stebz_case1_kernelIdPdEEv15rocblas_erange_T_S4_T0_ilPiS6_PS4_lS6_lS6_li.uses_vcc, 1
	.set _ZN9rocsolver6v33100L18stebz_case1_kernelIdPdEEv15rocblas_erange_T_S4_T0_ilPiS6_PS4_lS6_lS6_li.uses_flat_scratch, 0
	.set _ZN9rocsolver6v33100L18stebz_case1_kernelIdPdEEv15rocblas_erange_T_S4_T0_ilPiS6_PS4_lS6_lS6_li.has_dyn_sized_stack, 0
	.set _ZN9rocsolver6v33100L18stebz_case1_kernelIdPdEEv15rocblas_erange_T_S4_T0_ilPiS6_PS4_lS6_lS6_li.has_recursion, 0
	.set _ZN9rocsolver6v33100L18stebz_case1_kernelIdPdEEv15rocblas_erange_T_S4_T0_ilPiS6_PS4_lS6_lS6_li.has_indirect_call, 0
	.section	.AMDGPU.csdata,"",@progbits
; Kernel info:
; codeLenInByte = 512
; TotalNumSgprs: 30
; NumVgprs: 14
; NumAgprs: 0
; TotalNumVgprs: 14
; ScratchSize: 0
; MemoryBound: 0
; FloatMode: 240
; IeeeMode: 1
; LDSByteSize: 0 bytes/workgroup (compile time only)
; SGPRBlocks: 3
; VGPRBlocks: 1
; NumSGPRsForWavesPerEU: 30
; NumVGPRsForWavesPerEU: 14
; AccumOffset: 16
; Occupancy: 8
; WaveLimiterHint : 0
; COMPUTE_PGM_RSRC2:SCRATCH_EN: 0
; COMPUTE_PGM_RSRC2:USER_SGPR: 2
; COMPUTE_PGM_RSRC2:TRAP_HANDLER: 0
; COMPUTE_PGM_RSRC2:TGID_X_EN: 1
; COMPUTE_PGM_RSRC2:TGID_Y_EN: 0
; COMPUTE_PGM_RSRC2:TGID_Z_EN: 0
; COMPUTE_PGM_RSRC2:TIDIG_COMP_CNT: 0
; COMPUTE_PGM_RSRC3_GFX90A:ACCUM_OFFSET: 3
; COMPUTE_PGM_RSRC3_GFX90A:TG_SPLIT: 0
	.section	.text._ZN9rocsolver6v33100L22stebz_splitting_kernelIdPdEEv15rocblas_erange_iT_S4_iiT0_iiS5_iiPiPS4_lS6_lS6_S7_S7_S7_S7_S6_S4_S4_,"axG",@progbits,_ZN9rocsolver6v33100L22stebz_splitting_kernelIdPdEEv15rocblas_erange_iT_S4_iiT0_iiS5_iiPiPS4_lS6_lS6_S7_S7_S7_S7_S6_S4_S4_,comdat
	.globl	_ZN9rocsolver6v33100L22stebz_splitting_kernelIdPdEEv15rocblas_erange_iT_S4_iiT0_iiS5_iiPiPS4_lS6_lS6_S7_S7_S7_S7_S6_S4_S4_ ; -- Begin function _ZN9rocsolver6v33100L22stebz_splitting_kernelIdPdEEv15rocblas_erange_iT_S4_iiT0_iiS5_iiPiPS4_lS6_lS6_S7_S7_S7_S7_S6_S4_S4_
	.p2align	8
	.type	_ZN9rocsolver6v33100L22stebz_splitting_kernelIdPdEEv15rocblas_erange_iT_S4_iiT0_iiS5_iiPiPS4_lS6_lS6_S7_S7_S7_S7_S6_S4_S4_,@function
_ZN9rocsolver6v33100L22stebz_splitting_kernelIdPdEEv15rocblas_erange_iT_S4_iiT0_iiS5_iiPiPS4_lS6_lS6_S7_S7_S7_S7_S6_S4_S4_: ; @_ZN9rocsolver6v33100L22stebz_splitting_kernelIdPdEEv15rocblas_erange_iT_S4_iiT0_iiS5_iiPiPS4_lS6_lS6_S7_S7_S7_S7_S6_S4_S4_
; %bb.0:
	s_load_dwordx2 s[34:35], s[0:1], 0x0
	s_mov_b32 s40, s3
	v_mov_b32_e32 v2, 0
	v_mov_b32_e32 v6, 0
	s_waitcnt lgkmcnt(0)
	s_add_i32 s33, s35, -1
	s_ashr_i32 s2, s33, 31
	s_lshr_b32 s2, s2, 24
	s_add_i32 s2, s33, s2
	s_ashr_i32 s3, s2, 8
	s_and_b32 s2, s2, 0xffffff00
	s_sub_i32 s2, s33, s2
	v_mov_b32_e32 v1, s3
	v_cmp_gt_i32_e32 vcc, s2, v0
	v_cmp_eq_u32_e64 s[2:3], 0, v0
	s_nop 0
	v_addc_co_u32_e32 v22, vcc, 0, v1, vcc
	v_lshlrev_b32_e32 v1, 2, v0
	v_cmp_ne_u32_e32 vcc, 0, v0
	ds_write_b32 v1, v22 offset:2048
	s_waitcnt lgkmcnt(0)
	s_barrier
	s_and_saveexec_b64 s[6:7], vcc
	s_cbranch_execz .LBB16_16
; %bb.1:
	v_cmp_lt_u32_e64 s[4:5], 3, v0
	s_mov_b64 s[10:11], -1
	v_mov_b32_e32 v6, 0
	v_mov_b32_e32 v3, 0
	s_and_saveexec_b64 s[8:9], s[4:5]
	s_cbranch_execz .LBB16_11
; %bb.2:
	v_add_u32_e32 v4, -4, v0
	v_lshrrev_b32_e32 v3, 2, v4
	v_cmp_lt_u32_e64 s[4:5], 27, v4
	v_mov_b32_e32 v4, 0
	v_mov_b32_e32 v5, v4
	v_add_u32_e32 v3, 1, v3
	s_mov_b32 s14, 0
	v_mov_b64_e32 v[6:7], v[4:5]
	v_mov_b32_e32 v9, v4
	s_and_saveexec_b64 s[10:11], s[4:5]
	s_cbranch_execz .LBB16_6
; %bb.3:
	v_and_b32_e32 v8, 0x7ffffff8, v3
	s_movk_i32 s15, 0x800
	s_mov_b64 s[12:13], 0
	v_mov_b32_e32 v7, 0
	v_mov_b32_e32 v6, 0
	;; [unrolled: 1-line block ×4, first 2 shown]
.LBB16_4:                               ; =>This Inner Loop Header: Depth=1
	v_mov_b32_e32 v9, s15
	ds_read_b128 v[10:13], v9
	ds_read_b128 v[14:17], v9 offset:16
	ds_read_b128 v[18:21], v9 offset:32
	ds_read_b128 v[24:27], v9 offset:48
	ds_read_b128 v[28:31], v9 offset:64
	ds_read_b128 v[32:35], v9 offset:80
	ds_read_b128 v[36:39], v9 offset:96
	ds_read_b128 v[40:43], v9 offset:112
	s_waitcnt lgkmcnt(7)
	v_add_u32_e32 v6, v10, v6
	v_add_u32_e32 v7, v11, v7
	v_add_u32_e32 v4, v12, v4
	v_add_u32_e32 v5, v13, v5
	s_waitcnt lgkmcnt(6)
	v_add_u32_e32 v7, v15, v7
	v_add_u32_e32 v6, v14, v6
	v_add_u32_e32 v5, v17, v5
	v_add_u32_e32 v4, v16, v4
	;; [unrolled: 5-line block ×5, first 2 shown]
	v_add_u32_e32 v8, -8, v8
	s_waitcnt lgkmcnt(2)
	v_add_u32_e32 v7, v33, v7
	v_add_u32_e32 v6, v32, v6
	;; [unrolled: 1-line block ×4, first 2 shown]
	s_add_i32 s14, s14, 32
	s_addk_i32 s15, 0x80
	v_cmp_eq_u32_e64 s[4:5], 0, v8
	s_waitcnt lgkmcnt(1)
	v_add_u32_e32 v6, v36, v6
	v_add_u32_e32 v7, v37, v7
	;; [unrolled: 1-line block ×4, first 2 shown]
	v_mov_b32_e32 v9, s14
	s_or_b64 s[12:13], s[4:5], s[12:13]
	s_waitcnt lgkmcnt(0)
	v_add_u32_e32 v7, v41, v7
	v_add_u32_e32 v6, v40, v6
	;; [unrolled: 1-line block ×4, first 2 shown]
	s_andn2_b64 exec, exec, s[12:13]
	s_cbranch_execnz .LBB16_4
; %bb.5:
	s_or_b64 exec, exec, s[12:13]
.LBB16_6:
	s_or_b64 exec, exec, s[10:11]
	v_and_b32_e32 v3, 7, v3
	v_cmp_ne_u32_e64 s[4:5], 0, v3
	s_and_saveexec_b64 s[10:11], s[4:5]
	s_cbranch_execz .LBB16_10
; %bb.7:
	v_mov_b32_e32 v8, 0x800
	v_lshl_add_u32 v8, v9, 2, v8
	s_mov_b64 s[12:13], 0
.LBB16_8:                               ; =>This Inner Loop Header: Depth=1
	ds_read_b128 v[10:13], v8
	v_add_u32_e32 v3, -1, v3
	v_cmp_eq_u32_e64 s[4:5], 0, v3
	v_add_u32_e32 v8, 16, v8
	s_or_b64 s[12:13], s[4:5], s[12:13]
	s_waitcnt lgkmcnt(0)
	v_add_u32_e32 v7, v11, v7
	v_add_u32_e32 v6, v10, v6
	;; [unrolled: 1-line block ×4, first 2 shown]
	s_andn2_b64 exec, exec, s[12:13]
	s_cbranch_execnz .LBB16_8
; %bb.9:
	s_or_b64 exec, exec, s[12:13]
.LBB16_10:
	s_or_b64 exec, exec, s[10:11]
	v_and_b32_e32 v3, 0xfc, v0
	v_add_u32_e32 v5, v5, v7
	v_cmp_ne_u32_e64 s[4:5], v0, v3
	v_add3_u32 v6, v4, v6, v5
	s_orn2_b64 s[10:11], s[4:5], exec
.LBB16_11:
	s_or_b64 exec, exec, s[8:9]
	s_and_saveexec_b64 s[8:9], s[10:11]
	s_cbranch_execz .LBB16_15
; %bb.12:
	v_mov_b32_e32 v5, 0x800
	v_sub_u32_e32 v4, v0, v3
	v_lshl_or_b32 v3, v3, 2, v5
	s_mov_b64 s[10:11], 0
.LBB16_13:                              ; =>This Inner Loop Header: Depth=1
	ds_read_b32 v5, v3
	v_add_u32_e32 v4, -1, v4
	v_cmp_eq_u32_e64 s[4:5], 0, v4
	v_add_u32_e32 v3, 4, v3
	s_or_b64 s[10:11], s[4:5], s[10:11]
	s_waitcnt lgkmcnt(0)
	v_add_u32_e32 v6, v5, v6
	s_andn2_b64 exec, exec, s[10:11]
	s_cbranch_execnz .LBB16_13
; %bb.14:
	s_or_b64 exec, exec, s[10:11]
.LBB16_15:
	s_or_b64 exec, exec, s[8:9]
.LBB16_16:
	s_or_b64 exec, exec, s[6:7]
	s_load_dwordx4 s[36:39], s[0:1], 0x20
	s_load_dwordx16 s[8:23], s[0:1], 0x40
	s_load_dwordx2 s[46:47], s[0:1], 0xa0
	s_load_dwordx8 s[24:31], s[0:1], 0x80
	s_mul_i32 s4, s35, s40
	s_waitcnt lgkmcnt(0)
	s_ashr_i32 s43, s38, 31
	s_mov_b32 s42, s38
	s_mul_i32 s38, s33, s40
	s_ashr_i32 s5, s4, 31
	s_ashr_i32 s41, s40, 31
	s_mul_hi_i32 s45, s39, s40
	s_mul_i32 s44, s39, s40
	s_ashr_i32 s39, s38, 31
	s_lshl_b64 s[4:5], s[4:5], 2
	s_add_u32 s4, s18, s4
	s_mul_hi_u32 s6, s12, s40
	s_mul_i32 s7, s12, s41
	s_addc_u32 s5, s19, s5
	s_add_i32 s6, s6, s7
	s_mul_i32 s7, s13, s40
	v_ashrrev_i32_e32 v7, 31, v6
	s_add_i32 s13, s6, s7
	s_mul_i32 s12, s12, s40
	v_lshl_add_u64 v[4:5], v[6:7], 2, s[4:5]
	v_cmp_lt_i32_e64 s[4:5], 0, v22
	s_and_saveexec_b64 s[6:7], s[4:5]
	s_cbranch_execz .LBB16_22
; %bb.17:
	s_load_dwordx4 s[48:51], s[0:1], 0x30
	v_lshlrev_b64 v[2:3], 3, v[6:7]
	v_mov_b64_e32 v[16:17], s[46:47]
	s_waitcnt lgkmcnt(0)
	s_ashr_i32 s5, s50, 31
	s_mov_b32 s4, s50
	s_mul_hi_i32 s19, s40, s51
	s_mul_i32 s18, s40, s51
	s_lshl_b64 s[18:19], s[18:19], 3
	s_lshl_b64 s[4:5], s[4:5], 3
	s_add_u32 s4, s18, s4
	s_addc_u32 s5, s19, s5
	s_add_u32 s4, s48, s4
	s_addc_u32 s5, s49, s5
	v_lshl_add_u64 v[8:9], s[4:5], 0, v[2:3]
	s_lshl_b64 s[4:5], s[44:45], 3
	s_lshl_b64 s[18:19], s[42:43], 3
	s_add_u32 s4, s4, s18
	s_addc_u32 s5, s5, s19
	s_add_u32 s4, s36, s4
	s_addc_u32 s5, s37, s5
	v_lshl_add_u64 v[10:11], s[4:5], 0, v[2:3]
	s_lshl_b64 s[4:5], s[38:39], 3
	s_add_u32 s4, s22, s4
	s_addc_u32 s5, s23, s5
	v_lshl_add_u64 v[12:13], s[4:5], 0, v[2:3]
	s_lshl_b64 s[4:5], s[12:13], 3
	s_add_u32 s4, s10, s4
	s_addc_u32 s5, s11, s5
	v_lshl_add_u64 v[14:15], s[4:5], 0, v[2:3]
	v_mov_b32_e32 v2, 0
	s_mov_b64 s[18:19], 0
	s_branch .LBB16_19
.LBB16_18:                              ;   in Loop: Header=BB16_19 Depth=1
	s_or_b64 exec, exec, s[48:49]
	v_add_u32_e32 v22, -1, v22
	v_cmp_eq_u32_e64 s[4:5], 0, v22
	global_store_dwordx2 v[12:13], v[20:21], off
	global_store_dwordx2 v[14:15], v[18:19], off
	v_add_u32_e32 v6, 1, v6
	v_lshl_add_u64 v[8:9], v[8:9], 0, 8
	v_lshl_add_u64 v[10:11], v[10:11], 0, 8
	v_lshl_add_u64 v[12:13], v[12:13], 0, 8
	s_or_b64 s[18:19], s[4:5], s[18:19]
	v_lshl_add_u64 v[14:15], v[14:15], 0, 8
	s_andn2_b64 exec, exec, s[18:19]
	s_cbranch_execz .LBB16_21
.LBB16_19:                              ; =>This Inner Loop Header: Depth=1
	global_load_dwordx2 v[18:19], v[8:9], off
	global_load_dwordx4 v[24:27], v[10:11], off
	s_waitcnt vmcnt(1)
	v_mul_f64 v[20:21], v[18:19], v[18:19]
	s_waitcnt vmcnt(0)
	v_mul_f64 v[24:25], v[24:25], v[26:27]
	v_mul_f64 v[24:25], s[30:31], |v[24:25]|
	v_fma_f64 v[24:25], s[30:31], v[24:25], v[16:17]
	v_cmp_gt_f64_e64 s[4:5], v[24:25], v[20:21]
	s_and_saveexec_b64 s[48:49], s[4:5]
	s_cbranch_execz .LBB16_18
; %bb.20:                               ;   in Loop: Header=BB16_19 Depth=1
	v_ashrrev_i32_e32 v3, 31, v2
	v_add_u32_e32 v7, 1, v2
	v_lshl_add_u64 v[2:3], v[2:3], 2, v[4:5]
	global_store_dword v[2:3], v6, off
	v_mov_b64_e32 v[20:21], 0
	v_mov_b64_e32 v[18:19], 0
	v_mov_b32_e32 v2, v7
	s_branch .LBB16_18
.LBB16_21:
	s_or_b64 exec, exec, s[18:19]
.LBB16_22:
	s_or_b64 exec, exec, s[6:7]
	v_or_b32_e32 v1, 0x800, v1
	v_mov_b32_e32 v6, 0
	ds_write_b32 v1, v2
	s_waitcnt lgkmcnt(0)
	s_barrier
	s_and_saveexec_b64 s[4:5], vcc
	s_cbranch_execz .LBB16_38
; %bb.23:
	v_cmp_lt_u32_e32 vcc, 3, v0
	s_mov_b64 s[18:19], -1
	v_mov_b32_e32 v6, 0
	v_mov_b32_e32 v3, 0
	s_and_saveexec_b64 s[6:7], vcc
	s_cbranch_execz .LBB16_33
; %bb.24:
	v_add_u32_e32 v6, -4, v0
	v_lshrrev_b32_e32 v3, 2, v6
	v_cmp_lt_u32_e32 vcc, 27, v6
	v_mov_b32_e32 v6, 0
	v_mov_b32_e32 v7, v6
	v_add_u32_e32 v3, 1, v3
	s_mov_b32 s50, 0
	v_mov_b64_e32 v[8:9], v[6:7]
	v_mov_b32_e32 v11, v6
	s_and_saveexec_b64 s[18:19], vcc
	s_cbranch_execz .LBB16_28
; %bb.25:
	v_and_b32_e32 v10, 0x7ffffff8, v3
	s_movk_i32 s51, 0x800
	s_mov_b64 s[48:49], 0
	v_mov_b32_e32 v9, 0
	v_mov_b32_e32 v8, 0
	;; [unrolled: 1-line block ×4, first 2 shown]
.LBB16_26:                              ; =>This Inner Loop Header: Depth=1
	v_mov_b32_e32 v11, s51
	ds_read_b128 v[12:15], v11
	ds_read_b128 v[16:19], v11 offset:16
	ds_read_b128 v[20:23], v11 offset:32
	;; [unrolled: 1-line block ×7, first 2 shown]
	s_waitcnt lgkmcnt(7)
	v_add_u32_e32 v8, v12, v8
	v_add_u32_e32 v9, v13, v9
	v_add_u32_e32 v6, v14, v6
	v_add_u32_e32 v7, v15, v7
	s_waitcnt lgkmcnt(6)
	v_add_u32_e32 v9, v17, v9
	v_add_u32_e32 v8, v16, v8
	v_add_u32_e32 v7, v19, v7
	v_add_u32_e32 v6, v18, v6
	;; [unrolled: 5-line block ×5, first 2 shown]
	v_add_u32_e32 v10, -8, v10
	s_waitcnt lgkmcnt(2)
	v_add_u32_e32 v9, v33, v9
	v_add_u32_e32 v8, v32, v8
	v_add_u32_e32 v7, v35, v7
	v_add_u32_e32 v6, v34, v6
	s_add_i32 s50, s50, 32
	s_addk_i32 s51, 0x80
	v_cmp_eq_u32_e32 vcc, 0, v10
	s_waitcnt lgkmcnt(1)
	v_add_u32_e32 v8, v36, v8
	v_add_u32_e32 v9, v37, v9
	;; [unrolled: 1-line block ×4, first 2 shown]
	v_mov_b32_e32 v11, s50
	s_or_b64 s[48:49], vcc, s[48:49]
	s_waitcnt lgkmcnt(0)
	v_add_u32_e32 v9, v41, v9
	v_add_u32_e32 v8, v40, v8
	;; [unrolled: 1-line block ×4, first 2 shown]
	s_andn2_b64 exec, exec, s[48:49]
	s_cbranch_execnz .LBB16_26
; %bb.27:
	s_or_b64 exec, exec, s[48:49]
.LBB16_28:
	s_or_b64 exec, exec, s[18:19]
	v_and_b32_e32 v3, 7, v3
	v_cmp_ne_u32_e32 vcc, 0, v3
	s_and_saveexec_b64 s[18:19], vcc
	s_cbranch_execz .LBB16_32
; %bb.29:
	v_mov_b32_e32 v10, 0x800
	v_lshl_add_u32 v10, v11, 2, v10
	s_mov_b64 s[48:49], 0
.LBB16_30:                              ; =>This Inner Loop Header: Depth=1
	ds_read_b128 v[12:15], v10
	v_add_u32_e32 v3, -1, v3
	v_cmp_eq_u32_e32 vcc, 0, v3
	v_add_u32_e32 v10, 16, v10
	s_or_b64 s[48:49], vcc, s[48:49]
	s_waitcnt lgkmcnt(0)
	v_add_u32_e32 v9, v13, v9
	v_add_u32_e32 v8, v12, v8
	;; [unrolled: 1-line block ×4, first 2 shown]
	s_andn2_b64 exec, exec, s[48:49]
	s_cbranch_execnz .LBB16_30
; %bb.31:
	s_or_b64 exec, exec, s[48:49]
.LBB16_32:
	s_or_b64 exec, exec, s[18:19]
	v_and_b32_e32 v3, 0xfc, v0
	v_add_u32_e32 v7, v7, v9
	v_cmp_ne_u32_e32 vcc, v0, v3
	v_add3_u32 v6, v6, v8, v7
	s_orn2_b64 s[18:19], vcc, exec
.LBB16_33:
	s_or_b64 exec, exec, s[6:7]
	s_and_saveexec_b64 s[6:7], s[18:19]
	s_cbranch_execz .LBB16_37
; %bb.34:
	v_mov_b32_e32 v8, 0x800
	v_sub_u32_e32 v7, v0, v3
	v_lshl_or_b32 v3, v3, 2, v8
	s_mov_b64 s[18:19], 0
.LBB16_35:                              ; =>This Inner Loop Header: Depth=1
	ds_read_b32 v8, v3
	v_add_u32_e32 v7, -1, v7
	v_cmp_eq_u32_e32 vcc, 0, v7
	v_add_u32_e32 v3, 4, v3
	s_or_b64 s[18:19], vcc, s[18:19]
	s_waitcnt lgkmcnt(0)
	v_add_u32_e32 v6, v8, v6
	s_andn2_b64 exec, exec, s[18:19]
	s_cbranch_execnz .LBB16_35
; %bb.36:
	s_or_b64 exec, exec, s[18:19]
.LBB16_37:
	s_or_b64 exec, exec, s[6:7]
.LBB16_38:
	s_or_b64 exec, exec, s[4:5]
	s_mul_i32 s4, s16, s41
	s_mul_hi_u32 s5, s16, s40
	s_add_i32 s4, s5, s4
	s_mul_i32 s5, s17, s40
	s_add_i32 s7, s4, s5
	s_mul_i32 s6, s16, s40
	v_cmp_lt_i32_e32 vcc, 0, v2
	s_and_saveexec_b64 s[4:5], vcc
	s_cbranch_execz .LBB16_41
; %bb.39:
	s_lshl_b64 s[16:17], s[6:7], 2
	s_add_u32 s16, s14, s16
	v_ashrrev_i32_e32 v7, 31, v6
	s_addc_u32 s17, s15, s17
	v_lshl_add_u64 v[8:9], v[6:7], 2, s[16:17]
	s_mov_b64 s[16:17], 0
	v_mov_b32_e32 v3, v2
.LBB16_40:                              ; =>This Inner Loop Header: Depth=1
	global_load_dword v7, v[4:5], off
	v_add_u32_e32 v3, -1, v3
	v_cmp_eq_u32_e32 vcc, 0, v3
	v_lshl_add_u64 v[4:5], v[4:5], 0, 4
	s_or_b64 s[16:17], vcc, s[16:17]
	s_waitcnt vmcnt(0)
	v_add_u32_e32 v7, 1, v7
	global_store_dword v[8:9], v7, off
	v_lshl_add_u64 v[8:9], v[8:9], 0, 4
	s_andn2_b64 exec, exec, s[16:17]
	s_cbranch_execnz .LBB16_40
.LBB16_41:
	s_or_b64 exec, exec, s[4:5]
	s_movk_i32 s4, 0xff
	v_cmp_eq_u32_e64 s[4:5], s4, v0
	s_and_saveexec_b64 s[16:17], s[4:5]
	s_cbranch_execz .LBB16_43
; %bb.42:
	s_lshl_b64 s[18:19], s[40:41], 2
	s_add_u32 s8, s8, s18
	s_addc_u32 s9, s9, s19
	s_lshl_b64 s[6:7], s[6:7], 2
	s_add_u32 s6, s14, s6
	v_add_u32_e32 v2, v6, v2
	s_addc_u32 s7, s15, s7
	v_ashrrev_i32_e32 v3, 31, v2
	v_lshl_add_u64 v[4:5], v[2:3], 2, s[6:7]
	v_mov_b32_e32 v3, s35
	v_mov_b32_e32 v7, 0
	v_add_u32_e32 v2, 1, v2
	global_store_dword v[4:5], v3, off
	global_store_dword v7, v2, s[8:9]
.LBB16_43:
	s_or_b64 exec, exec, s[16:17]
	v_cmp_gt_i32_e32 vcc, s33, v0
	v_mov_b64_e32 v[4:5], 0
	v_bfrev_b32_e32 v3, -2
	v_lshlrev_b32_e32 v2, 3, v0
	s_barrier
	s_and_saveexec_b64 s[8:9], vcc
	s_cbranch_execz .LBB16_47
; %bb.44:
	s_lshl_b64 s[6:7], s[38:39], 3
	s_add_u32 s6, s22, s6
	v_mov_b32_e32 v3, 0
	s_addc_u32 s7, s23, s7
	v_lshl_add_u64 v[6:7], s[6:7], 0, v[2:3]
	v_mov_b64_e32 v[4:5], 0
	v_bfrev_b32_e32 v3, -2
	s_mov_b64 s[14:15], 0
	s_brev_b32 s18, -2
	s_mov_b64 s[16:17], 0x800
	v_mov_b32_e32 v8, v0
.LBB16_45:                              ; =>This Inner Loop Header: Depth=1
	global_load_dwordx2 v[10:11], v[6:7], off
	v_cmp_eq_u32_e32 vcc, s18, v3
	v_add_u32_e32 v9, 1, v8
	v_add_u32_e32 v8, 0x100, v8
	v_cmp_le_i32_e64 s[6:7], s33, v8
	v_lshl_add_u64 v[6:7], v[6:7], 0, s[16:17]
	s_waitcnt vmcnt(0)
	v_cmp_lt_f64_e64 s[48:49], v[4:5], |v[10:11]|
	v_and_b32_e32 v12, 0x7fffffff, v11
	s_or_b64 vcc, s[48:49], vcc
	v_cndmask_b32_e32 v5, v5, v12, vcc
	v_cndmask_b32_e32 v4, v4, v10, vcc
	s_or_b64 s[14:15], s[6:7], s[14:15]
	v_cndmask_b32_e32 v3, v3, v9, vcc
	s_andn2_b64 exec, exec, s[14:15]
	s_cbranch_execnz .LBB16_45
; %bb.46:
	s_or_b64 exec, exec, s[14:15]
.LBB16_47:
	s_or_b64 exec, exec, s[8:9]
	s_cmp_lt_i32 s35, 3
	ds_write_b64 v2, v[4:5]
	ds_write_b32 v1, v3
	s_waitcnt lgkmcnt(0)
	s_barrier
	s_cbranch_scc1 .LBB16_82
; %bb.48:
	s_movk_i32 s6, 0x80
	v_cmp_gt_u32_e32 vcc, s6, v0
	s_and_saveexec_b64 s[8:9], vcc
	s_cbranch_execz .LBB16_54
; %bb.49:
	ds_read_b64 v[6:7], v2 offset:1024
	ds_read_b32 v8, v1 offset:512
	s_waitcnt lgkmcnt(1)
	v_cmp_lt_f64_e64 s[14:15], v[4:5], v[6:7]
	v_cmp_nlt_f64_e32 vcc, v[4:5], v[6:7]
	s_and_saveexec_b64 s[16:17], vcc
	s_cbranch_execz .LBB16_51
; %bb.50:
	v_cmp_eq_f64_e32 vcc, v[4:5], v[6:7]
	s_waitcnt lgkmcnt(0)
	v_cmp_gt_i32_e64 s[6:7], v3, v8
	s_and_b64 s[6:7], vcc, s[6:7]
	s_andn2_b64 s[14:15], s[14:15], exec
	s_and_b64 s[6:7], s[6:7], exec
	s_or_b64 s[14:15], s[14:15], s[6:7]
.LBB16_51:
	s_or_b64 exec, exec, s[16:17]
	s_and_saveexec_b64 s[6:7], s[14:15]
	s_cbranch_execz .LBB16_53
; %bb.52:
	s_waitcnt lgkmcnt(0)
	v_mov_b32_e32 v3, v8
	v_mov_b64_e32 v[4:5], v[6:7]
	ds_write_b64 v2, v[6:7]
	ds_write_b32 v1, v8
.LBB16_53:
	s_or_b64 exec, exec, s[6:7]
.LBB16_54:
	s_or_b64 exec, exec, s[8:9]
	v_cmp_gt_u32_e32 vcc, 64, v0
	s_waitcnt lgkmcnt(0)
	s_barrier
	s_and_saveexec_b64 s[14:15], vcc
	s_cbranch_execz .LBB16_81
; %bb.55:
	ds_read_b64 v[6:7], v2 offset:512
	ds_read_b32 v8, v1 offset:256
	s_waitcnt lgkmcnt(1)
	v_cmp_lt_f64_e64 s[8:9], v[4:5], v[6:7]
	v_cmp_nlt_f64_e32 vcc, v[4:5], v[6:7]
	s_and_saveexec_b64 s[16:17], vcc
	s_cbranch_execz .LBB16_57
; %bb.56:
	v_cmp_eq_f64_e32 vcc, v[4:5], v[6:7]
	s_waitcnt lgkmcnt(0)
	v_cmp_gt_i32_e64 s[6:7], v3, v8
	s_and_b64 s[6:7], vcc, s[6:7]
	s_andn2_b64 s[8:9], s[8:9], exec
	s_and_b64 s[6:7], s[6:7], exec
	s_or_b64 s[8:9], s[8:9], s[6:7]
.LBB16_57:
	s_or_b64 exec, exec, s[16:17]
	s_and_saveexec_b64 s[6:7], s[8:9]
	s_cbranch_execz .LBB16_59
; %bb.58:
	v_mov_b64_e32 v[4:5], v[6:7]
	s_waitcnt lgkmcnt(0)
	v_mov_b32_e32 v3, v8
	ds_write_b64 v2, v[6:7]
	ds_write_b32 v1, v8
.LBB16_59:
	s_or_b64 exec, exec, s[6:7]
	ds_read_b64 v[6:7], v2 offset:256
	s_waitcnt lgkmcnt(1)
	ds_read_b32 v8, v1 offset:128
	s_waitcnt lgkmcnt(1)
	v_cmp_lt_f64_e64 s[8:9], v[4:5], v[6:7]
	v_cmp_nlt_f64_e32 vcc, v[4:5], v[6:7]
	s_and_saveexec_b64 s[16:17], vcc
	s_cbranch_execz .LBB16_61
; %bb.60:
	v_cmp_eq_f64_e32 vcc, v[4:5], v[6:7]
	s_waitcnt lgkmcnt(0)
	v_cmp_gt_i32_e64 s[6:7], v3, v8
	s_and_b64 s[6:7], vcc, s[6:7]
	s_andn2_b64 s[8:9], s[8:9], exec
	s_and_b64 s[6:7], s[6:7], exec
	s_or_b64 s[8:9], s[8:9], s[6:7]
.LBB16_61:
	s_or_b64 exec, exec, s[16:17]
	s_and_saveexec_b64 s[6:7], s[8:9]
	s_cbranch_execz .LBB16_63
; %bb.62:
	v_mov_b64_e32 v[4:5], v[6:7]
	s_waitcnt lgkmcnt(0)
	v_mov_b32_e32 v3, v8
	ds_write_b64 v2, v[6:7]
	ds_write_b32 v1, v8
.LBB16_63:
	s_or_b64 exec, exec, s[6:7]
	ds_read_b64 v[6:7], v2 offset:128
	s_waitcnt lgkmcnt(1)
	;; [unrolled: 28-line block ×6, first 2 shown]
	ds_read_b32 v8, v1 offset:4
	s_waitcnt lgkmcnt(1)
	v_cmp_eq_f64_e64 s[6:7], v[4:5], v[6:7]
	s_waitcnt lgkmcnt(0)
	v_cmp_gt_i32_e64 s[8:9], v3, v8
	v_cmp_lt_f64_e32 vcc, v[4:5], v[6:7]
	s_and_b64 s[6:7], s[6:7], s[8:9]
	s_or_b64 s[6:7], vcc, s[6:7]
	s_and_b64 exec, exec, s[6:7]
	s_cbranch_execz .LBB16_81
; %bb.80:
	ds_write_b64 v2, v[6:7]
	ds_write_b32 v1, v8
.LBB16_81:
	s_or_b64 exec, exec, s[14:15]
.LBB16_82:
	v_mov_b32_e32 v1, 0
	s_waitcnt lgkmcnt(0)
	s_barrier
	ds_read_b64 v[2:3], v1
	s_load_dwordx4 s[48:51], s[0:1], 0x8
	v_mov_b32_e32 v1, s47
	s_mov_b64 s[18:19], -1
	s_cmpk_lg_i32 s34, 0xe9
	s_waitcnt lgkmcnt(0)
	v_mul_f64 v[2:3], s[46:47], v[2:3]
	v_cmp_gt_f64_e32 vcc, s[46:47], v[2:3]
	v_mov_b64_e32 v[4:5], s[50:51]
	s_nop 0
	v_cndmask_b32_e32 v7, v3, v1, vcc
	v_mov_b32_e32 v1, s46
	v_cndmask_b32_e32 v6, v2, v1, vcc
	v_mov_b64_e32 v[2:3], s[48:49]
	s_cbranch_scc1 .LBB16_131
; %bb.83:
	s_lshl_b64 s[44:45], s[44:45], 3
	s_add_u32 s6, s36, s44
	s_addc_u32 s7, s37, s45
	s_lshl_b64 s[42:43], s[42:43], 3
	s_add_u32 s46, s6, s42
	s_addc_u32 s47, s7, s43
	;; [unrolled: 3-line block ×4, first 2 shown]
	s_lshl_b32 s10, s35, 1
	s_mul_i32 s6, s10, s40
	s_ashr_i32 s7, s6, 31
	s_lshl_b64 s[16:17], s[6:7], 3
	s_add_u32 s8, s26, s16
	s_addc_u32 s9, s27, s17
	s_lshl_b64 s[12:13], s[6:7], 2
	s_add_u32 s14, s28, s12
	s_addc_u32 s15, s29, s13
	s_and_saveexec_b64 s[38:39], s[2:3]
	s_cbranch_execz .LBB16_91
; %bb.84:
	v_mov_b32_e32 v1, 0
	global_load_dwordx2 v[4:5], v1, s[22:23]
	global_load_dwordx2 v[10:11], v1, s[46:47]
	s_cmp_gt_i32 s35, 1
	s_cselect_b64 s[48:49], -1, 0
	s_cmp_lt_i32 s35, 2
	s_waitcnt vmcnt(1)
	v_and_b32_e32 v9, 0x7fffffff, v5
	s_waitcnt vmcnt(0)
	v_add_f64 v[2:3], v[10:11], -|v[4:5]|
	v_add_f64 v[12:13], v[10:11], -v[2:3]
	v_cmp_le_f64_e32 vcc, v[12:13], v[6:7]
	s_nop 1
	v_cndmask_b32_e64 v8, 0, 1, vcc
	s_cbranch_scc1 .LBB16_87
; %bb.85:
	v_cmp_gt_f64_e64 s[6:7], v[12:13], -v[6:7]
	s_and_b64 vcc, vcc, s[6:7]
	s_add_u32 s6, s44, s42
	s_addc_u32 s7, s45, s43
	s_add_u32 s6, s36, s6
	s_addc_u32 s7, s37, s7
	v_xor_b32_e32 v5, 0x80000000, v7
	s_add_u32 s50, s6, 8
	v_cndmask_b32_e32 v13, v13, v5, vcc
	v_cndmask_b32_e32 v12, v12, v6, vcc
	s_addc_u32 s51, s7, 0
	s_mov_b64 s[52:53], s[18:19]
	s_mov_b32 s11, s33
.LBB16_86:                              ; =>This Inner Loop Header: Depth=1
	global_load_dwordx2 v[14:15], v1, s[50:51]
	global_load_dwordx2 v[16:17], v1, s[52:53]
	s_add_i32 s11, s11, -1
	s_waitcnt vmcnt(1)
	v_add_f64 v[14:15], v[14:15], -v[2:3]
	s_waitcnt vmcnt(0)
	v_div_scale_f64 v[18:19], s[6:7], v[12:13], v[12:13], v[16:17]
	v_rcp_f64_e32 v[22:23], v[18:19]
	v_div_scale_f64 v[20:21], vcc, v[16:17], v[12:13], v[16:17]
	v_fma_f64 v[24:25], -v[18:19], v[22:23], 1.0
	v_fmac_f64_e32 v[22:23], v[22:23], v[24:25]
	v_fma_f64 v[24:25], -v[18:19], v[22:23], 1.0
	v_fmac_f64_e32 v[22:23], v[22:23], v[24:25]
	v_mul_f64 v[24:25], v[20:21], v[22:23]
	v_fma_f64 v[18:19], -v[18:19], v[24:25], v[20:21]
	v_div_fmas_f64 v[18:19], v[18:19], v[22:23], v[24:25]
	v_div_fixup_f64 v[12:13], v[18:19], v[12:13], v[16:17]
	v_add_f64 v[12:13], v[14:15], -v[12:13]
	v_cmp_gt_f64_e64 s[54:55], v[12:13], -v[6:7]
	v_cmp_le_f64_e32 vcc, v[12:13], v[6:7]
	s_nop 1
	v_addc_co_u32_e64 v8, s[6:7], 0, v8, vcc
	s_and_b64 vcc, vcc, s[54:55]
	s_add_u32 s50, s50, 8
	s_addc_u32 s51, s51, 0
	s_add_u32 s52, s52, 8
	s_addc_u32 s53, s53, 0
	v_cndmask_b32_e32 v13, v13, v5, vcc
	s_cmp_lg_u32 s11, 0
	v_cndmask_b32_e32 v12, v12, v6, vcc
	s_cbranch_scc1 .LBB16_86
.LBB16_87:
	v_mov_b32_e32 v5, v9
	v_add_f64 v[4:5], v[10:11], v[4:5]
	v_add_f64 v[10:11], v[10:11], -v[4:5]
	v_cmp_le_f64_e64 s[6:7], v[10:11], v[6:7]
	s_andn2_b64 vcc, exec, s[48:49]
	s_nop 0
	v_cndmask_b32_e64 v9, 0, 1, s[6:7]
	s_cbranch_vccnz .LBB16_90
; %bb.88:
	v_cmp_gt_f64_e64 s[48:49], v[10:11], -v[6:7]
	s_and_b64 vcc, s[6:7], s[48:49]
	s_add_u32 s6, s44, s42
	s_addc_u32 s7, s45, s43
	s_add_u32 s6, s36, s6
	s_addc_u32 s7, s37, s7
	v_xor_b32_e32 v1, 0x80000000, v7
	s_add_u32 s48, s6, 8
	v_cndmask_b32_e32 v11, v11, v1, vcc
	v_cndmask_b32_e32 v10, v10, v6, vcc
	s_addc_u32 s49, s7, 0
	v_mov_b32_e32 v12, 0
	s_mov_b64 s[50:51], s[18:19]
	s_mov_b32 s11, s33
.LBB16_89:                              ; =>This Inner Loop Header: Depth=1
	global_load_dwordx2 v[14:15], v12, s[48:49]
	global_load_dwordx2 v[16:17], v12, s[50:51]
	s_add_i32 s11, s11, -1
	s_waitcnt vmcnt(1)
	v_add_f64 v[14:15], v[14:15], -v[4:5]
	s_waitcnt vmcnt(0)
	v_div_scale_f64 v[18:19], s[6:7], v[10:11], v[10:11], v[16:17]
	v_rcp_f64_e32 v[22:23], v[18:19]
	v_div_scale_f64 v[20:21], vcc, v[16:17], v[10:11], v[16:17]
	v_fma_f64 v[24:25], -v[18:19], v[22:23], 1.0
	v_fmac_f64_e32 v[22:23], v[22:23], v[24:25]
	v_fma_f64 v[24:25], -v[18:19], v[22:23], 1.0
	v_fmac_f64_e32 v[22:23], v[22:23], v[24:25]
	v_mul_f64 v[24:25], v[20:21], v[22:23]
	v_fma_f64 v[18:19], -v[18:19], v[24:25], v[20:21]
	v_div_fmas_f64 v[18:19], v[18:19], v[22:23], v[24:25]
	v_div_fixup_f64 v[10:11], v[18:19], v[10:11], v[16:17]
	v_add_f64 v[10:11], v[14:15], -v[10:11]
	v_cmp_gt_f64_e64 s[52:53], v[10:11], -v[6:7]
	v_cmp_le_f64_e32 vcc, v[10:11], v[6:7]
	s_nop 1
	v_addc_co_u32_e64 v9, s[6:7], 0, v9, vcc
	s_and_b64 vcc, vcc, s[52:53]
	s_add_u32 s48, s48, 8
	s_addc_u32 s49, s49, 0
	s_add_u32 s50, s50, 8
	s_addc_u32 s51, s51, 0
	v_cndmask_b32_e32 v11, v11, v1, vcc
	s_cmp_lg_u32 s11, 0
	v_cndmask_b32_e32 v10, v10, v6, vcc
	s_cbranch_scc1 .LBB16_89
.LBB16_90:
	v_mov_b32_e32 v1, 0
	global_store_dwordx4 v1, v[2:5], s[8:9]
	global_store_dwordx2 v1, v[8:9], s[14:15]
.LBB16_91:
	s_or_b64 exec, exec, s[38:39]
	v_add_u32_e32 v4, 1, v0
	v_cmp_gt_i32_e32 vcc, s33, v4
	s_and_saveexec_b64 s[38:39], vcc
	s_cbranch_execz .LBB16_98
; %bb.92:
	s_add_u32 s6, s44, s42
	s_addc_u32 s7, s45, s43
	s_add_u32 s6, s36, s6
	s_addc_u32 s7, s37, s7
	;; [unrolled: 2-line block ×3, first 2 shown]
	s_mov_b64 s[50:51], 0
	v_mov_b32_e32 v5, 0
	v_xor_b32_e32 v16, 0x80000000, v7
.LBB16_93:                              ; =>This Loop Header: Depth=1
                                        ;     Child Loop BB16_94 Depth 2
                                        ;     Child Loop BB16_96 Depth 2
	v_lshlrev_b64 v[0:1], 3, v[4:5]
	v_lshl_add_u64 v[8:9], s[46:47], 0, v[0:1]
	v_lshl_add_u64 v[0:1], s[22:23], 0, v[0:1]
	global_load_dwordx4 v[12:15], v[0:1], off offset:-8
	global_load_dwordx2 v[2:3], v[8:9], off
	global_load_dwordx2 v[10:11], v5, s[46:47]
	s_mov_b32 s11, 1
	s_mov_b64 s[52:53], s[18:19]
	s_mov_b64 s[54:55], s[48:49]
	s_waitcnt vmcnt(2)
	v_add_f64 v[12:13], |v[14:15]|, |v[12:13]|
	s_waitcnt vmcnt(1)
	v_add_f64 v[0:1], v[2:3], -v[12:13]
	s_waitcnt vmcnt(0)
	v_add_f64 v[14:15], v[10:11], -v[0:1]
	v_cmp_le_f64_e32 vcc, v[14:15], v[6:7]
	v_cmp_gt_f64_e64 s[6:7], v[14:15], -v[6:7]
	s_nop 0
	v_cndmask_b32_e64 v8, 0, 1, vcc
	s_and_b64 vcc, vcc, s[6:7]
	v_cndmask_b32_e32 v15, v15, v16, vcc
	v_cndmask_b32_e32 v14, v14, v6, vcc
.LBB16_94:                              ;   Parent Loop BB16_93 Depth=1
                                        ; =>  This Inner Loop Header: Depth=2
	global_load_dwordx2 v[18:19], v5, s[54:55]
	global_load_dwordx2 v[20:21], v5, s[52:53]
	s_add_i32 s11, s11, 1
	s_waitcnt vmcnt(1)
	v_add_f64 v[18:19], v[18:19], -v[0:1]
	s_waitcnt vmcnt(0)
	v_div_scale_f64 v[22:23], s[6:7], v[14:15], v[14:15], v[20:21]
	v_rcp_f64_e32 v[26:27], v[22:23]
	v_div_scale_f64 v[24:25], vcc, v[20:21], v[14:15], v[20:21]
	v_fma_f64 v[28:29], -v[22:23], v[26:27], 1.0
	v_fmac_f64_e32 v[26:27], v[26:27], v[28:29]
	v_fma_f64 v[28:29], -v[22:23], v[26:27], 1.0
	v_fmac_f64_e32 v[26:27], v[26:27], v[28:29]
	v_mul_f64 v[28:29], v[24:25], v[26:27]
	v_fma_f64 v[22:23], -v[22:23], v[28:29], v[24:25]
	v_div_fmas_f64 v[22:23], v[22:23], v[26:27], v[28:29]
	v_div_fixup_f64 v[14:15], v[22:23], v[14:15], v[20:21]
	v_add_f64 v[14:15], v[18:19], -v[14:15]
	v_cmp_gt_f64_e64 s[56:57], v[14:15], -v[6:7]
	v_cmp_le_f64_e32 vcc, v[14:15], v[6:7]
	s_nop 1
	v_addc_co_u32_e64 v8, s[6:7], 0, v8, vcc
	s_and_b64 vcc, vcc, s[56:57]
	s_add_u32 s54, s54, 8
	s_addc_u32 s55, s55, 0
	s_add_u32 s52, s52, 8
	s_addc_u32 s53, s53, 0
	v_cndmask_b32_e32 v15, v15, v16, vcc
	s_cmp_lg_u32 s35, s11
	v_cndmask_b32_e32 v14, v14, v6, vcc
	s_cbranch_scc1 .LBB16_94
; %bb.95:                               ;   in Loop: Header=BB16_93 Depth=1
	v_add_f64 v[2:3], v[2:3], v[12:13]
	v_add_f64 v[10:11], v[10:11], -v[2:3]
	v_cmp_le_f64_e32 vcc, v[10:11], v[6:7]
	v_cmp_gt_f64_e64 s[6:7], v[10:11], -v[6:7]
	s_mov_b64 s[52:53], s[18:19]
	v_cndmask_b32_e64 v9, 0, 1, vcc
	s_and_b64 vcc, vcc, s[6:7]
	v_cndmask_b32_e32 v11, v11, v16, vcc
	v_cndmask_b32_e32 v10, v10, v6, vcc
	s_mov_b64 s[54:55], s[48:49]
	s_mov_b32 s11, s33
.LBB16_96:                              ;   Parent Loop BB16_93 Depth=1
                                        ; =>  This Inner Loop Header: Depth=2
	global_load_dwordx2 v[12:13], v5, s[54:55]
	global_load_dwordx2 v[14:15], v5, s[52:53]
	s_add_i32 s11, s11, -1
	s_waitcnt vmcnt(1)
	v_add_f64 v[12:13], v[12:13], -v[2:3]
	s_waitcnt vmcnt(0)
	v_div_scale_f64 v[18:19], s[6:7], v[10:11], v[10:11], v[14:15]
	v_rcp_f64_e32 v[22:23], v[18:19]
	v_div_scale_f64 v[20:21], vcc, v[14:15], v[10:11], v[14:15]
	v_fma_f64 v[24:25], -v[18:19], v[22:23], 1.0
	v_fmac_f64_e32 v[22:23], v[22:23], v[24:25]
	v_fma_f64 v[24:25], -v[18:19], v[22:23], 1.0
	v_fmac_f64_e32 v[22:23], v[22:23], v[24:25]
	v_mul_f64 v[24:25], v[20:21], v[22:23]
	v_fma_f64 v[18:19], -v[18:19], v[24:25], v[20:21]
	v_div_fmas_f64 v[18:19], v[18:19], v[22:23], v[24:25]
	v_div_fixup_f64 v[10:11], v[18:19], v[10:11], v[14:15]
	v_add_f64 v[10:11], v[12:13], -v[10:11]
	v_cmp_gt_f64_e64 s[56:57], v[10:11], -v[6:7]
	v_cmp_le_f64_e32 vcc, v[10:11], v[6:7]
	s_nop 1
	v_addc_co_u32_e64 v9, s[6:7], 0, v9, vcc
	s_and_b64 vcc, vcc, s[56:57]
	s_add_u32 s54, s54, 8
	s_addc_u32 s55, s55, 0
	s_add_u32 s52, s52, 8
	s_addc_u32 s53, s53, 0
	v_cndmask_b32_e32 v11, v11, v16, vcc
	s_cmp_lg_u32 s11, 0
	v_cndmask_b32_e32 v10, v10, v6, vcc
	s_cbranch_scc1 .LBB16_96
; %bb.97:                               ;   in Loop: Header=BB16_93 Depth=1
	v_lshlrev_b32_e32 v10, 1, v4
	v_add_u32_e32 v4, 0x100, v4
	v_mov_b32_e32 v11, v5
	v_cmp_le_i32_e32 vcc, s33, v4
	v_lshl_add_u64 v[12:13], v[10:11], 3, s[8:9]
	v_lshl_add_u64 v[10:11], v[10:11], 2, s[14:15]
	s_or_b64 s[50:51], vcc, s[50:51]
	global_store_dwordx4 v[12:13], v[0:3], off
	global_store_dwordx2 v[10:11], v[8:9], off
	s_andn2_b64 exec, exec, s[50:51]
	s_cbranch_execnz .LBB16_93
.LBB16_98:
	s_or_b64 exec, exec, s[38:39]
	s_and_saveexec_b64 s[6:7], s[4:5]
	s_cbranch_execz .LBB16_106
; %bb.99:
	s_ashr_i32 s5, s35, 31
	s_mov_b32 s4, s35
	s_lshl_b64 s[4:5], s[4:5], 3
	s_add_u32 s38, s46, s4
	s_addc_u32 s39, s47, s5
	s_add_u32 s4, s22, s4
	v_mov_b32_e32 v5, 0
	s_addc_u32 s5, s23, s5
	global_load_dwordx2 v[2:3], v5, s[4:5] offset:-16
	global_load_dwordx2 v[8:9], v5, s[38:39] offset:-8
	global_load_dwordx2 v[10:11], v5, s[46:47]
	s_cmp_gt_i32 s35, 1
	s_cselect_b64 s[22:23], -1, 0
	s_cmp_lt_i32 s35, 2
	s_waitcnt vmcnt(2)
	v_and_b32_e32 v14, 0x7fffffff, v3
	s_waitcnt vmcnt(1)
	v_add_f64 v[0:1], v[8:9], -|v[2:3]|
	s_waitcnt vmcnt(0)
	v_add_f64 v[12:13], v[10:11], -v[0:1]
	v_cmp_le_f64_e32 vcc, v[12:13], v[6:7]
	s_nop 1
	v_cndmask_b32_e64 v4, 0, 1, vcc
	s_cbranch_scc1 .LBB16_102
; %bb.100:
	v_cmp_gt_f64_e64 s[4:5], v[12:13], -v[6:7]
	s_and_b64 vcc, vcc, s[4:5]
	s_add_u32 s4, s44, s42
	s_addc_u32 s5, s45, s43
	s_add_u32 s4, s36, s4
	s_addc_u32 s5, s37, s5
	v_xor_b32_e32 v3, 0x80000000, v7
	s_add_u32 s38, s4, 8
	v_cndmask_b32_e32 v13, v13, v3, vcc
	v_cndmask_b32_e32 v12, v12, v6, vcc
	s_addc_u32 s39, s5, 0
	s_mov_b64 s[46:47], s[18:19]
	s_mov_b32 s11, s33
.LBB16_101:                             ; =>This Inner Loop Header: Depth=1
	global_load_dwordx2 v[16:17], v5, s[38:39]
	global_load_dwordx2 v[18:19], v5, s[46:47]
	s_add_i32 s11, s11, -1
	s_waitcnt vmcnt(1)
	v_add_f64 v[16:17], v[16:17], -v[0:1]
	s_waitcnt vmcnt(0)
	v_div_scale_f64 v[20:21], s[4:5], v[12:13], v[12:13], v[18:19]
	v_rcp_f64_e32 v[24:25], v[20:21]
	v_div_scale_f64 v[22:23], vcc, v[18:19], v[12:13], v[18:19]
	v_fma_f64 v[26:27], -v[20:21], v[24:25], 1.0
	v_fmac_f64_e32 v[24:25], v[24:25], v[26:27]
	v_fma_f64 v[26:27], -v[20:21], v[24:25], 1.0
	v_fmac_f64_e32 v[24:25], v[24:25], v[26:27]
	v_mul_f64 v[26:27], v[22:23], v[24:25]
	v_fma_f64 v[20:21], -v[20:21], v[26:27], v[22:23]
	v_div_fmas_f64 v[20:21], v[20:21], v[24:25], v[26:27]
	v_div_fixup_f64 v[12:13], v[20:21], v[12:13], v[18:19]
	v_add_f64 v[12:13], v[16:17], -v[12:13]
	v_cmp_gt_f64_e64 s[48:49], v[12:13], -v[6:7]
	v_cmp_le_f64_e32 vcc, v[12:13], v[6:7]
	s_nop 1
	v_addc_co_u32_e64 v4, s[4:5], 0, v4, vcc
	s_and_b64 vcc, vcc, s[48:49]
	s_add_u32 s38, s38, 8
	s_addc_u32 s39, s39, 0
	s_add_u32 s46, s46, 8
	s_addc_u32 s47, s47, 0
	v_cndmask_b32_e32 v13, v13, v3, vcc
	s_cmp_lg_u32 s11, 0
	v_cndmask_b32_e32 v12, v12, v6, vcc
	s_cbranch_scc1 .LBB16_101
.LBB16_102:
	v_mov_b32_e32 v3, v14
	v_add_f64 v[2:3], v[8:9], v[2:3]
	v_add_f64 v[8:9], v[10:11], -v[2:3]
	v_cmp_le_f64_e64 s[4:5], v[8:9], v[6:7]
	s_andn2_b64 vcc, exec, s[22:23]
	s_nop 0
	v_cndmask_b32_e64 v5, 0, 1, s[4:5]
	s_cbranch_vccnz .LBB16_105
; %bb.103:
	v_cmp_gt_f64_e64 s[22:23], v[8:9], -v[6:7]
	s_and_b64 vcc, s[4:5], s[22:23]
	s_add_u32 s4, s44, s42
	s_addc_u32 s5, s45, s43
	s_add_u32 s4, s36, s4
	s_addc_u32 s5, s37, s5
	v_xor_b32_e32 v10, 0x80000000, v7
	s_add_u32 s22, s4, 8
	v_cndmask_b32_e32 v9, v9, v10, vcc
	v_cndmask_b32_e32 v8, v8, v6, vcc
	s_addc_u32 s23, s5, 0
	v_mov_b32_e32 v11, 0
.LBB16_104:                             ; =>This Inner Loop Header: Depth=1
	global_load_dwordx2 v[12:13], v11, s[22:23]
	global_load_dwordx2 v[14:15], v11, s[18:19]
	s_add_i32 s33, s33, -1
	s_waitcnt vmcnt(1)
	v_add_f64 v[12:13], v[12:13], -v[2:3]
	s_waitcnt vmcnt(0)
	v_div_scale_f64 v[16:17], s[4:5], v[8:9], v[8:9], v[14:15]
	v_rcp_f64_e32 v[20:21], v[16:17]
	v_div_scale_f64 v[18:19], vcc, v[14:15], v[8:9], v[14:15]
	v_fma_f64 v[22:23], -v[16:17], v[20:21], 1.0
	v_fmac_f64_e32 v[20:21], v[20:21], v[22:23]
	v_fma_f64 v[22:23], -v[16:17], v[20:21], 1.0
	v_fmac_f64_e32 v[20:21], v[20:21], v[22:23]
	v_mul_f64 v[22:23], v[18:19], v[20:21]
	v_fma_f64 v[16:17], -v[16:17], v[22:23], v[18:19]
	v_div_fmas_f64 v[16:17], v[16:17], v[20:21], v[22:23]
	v_div_fixup_f64 v[8:9], v[16:17], v[8:9], v[14:15]
	v_add_f64 v[8:9], v[12:13], -v[8:9]
	v_cmp_gt_f64_e64 s[36:37], v[8:9], -v[6:7]
	v_cmp_le_f64_e32 vcc, v[8:9], v[6:7]
	s_nop 1
	v_addc_co_u32_e64 v5, s[4:5], 0, v5, vcc
	s_and_b64 vcc, vcc, s[36:37]
	s_add_u32 s22, s22, 8
	s_addc_u32 s23, s23, 0
	s_add_u32 s18, s18, 8
	s_addc_u32 s19, s19, 0
	v_cndmask_b32_e32 v9, v9, v10, vcc
	s_cmp_lg_u32 s33, 0
	v_cndmask_b32_e32 v8, v8, v6, vcc
	s_cbranch_scc1 .LBB16_104
.LBB16_105:
	s_ashr_i32 s11, s10, 31
	s_lshl_b64 s[4:5], s[10:11], 3
	s_add_u32 s4, s8, s4
	s_addc_u32 s5, s9, s5
	s_lshl_b64 s[18:19], s[10:11], 2
	v_mov_b32_e32 v8, 0
	s_add_u32 s18, s14, s18
	s_addc_u32 s19, s15, s19
	global_store_dwordx4 v8, v[0:3], s[4:5] offset:-16
	global_store_dwordx2 v8, v[4:5], s[18:19] offset:-8
.LBB16_106:
	s_or_b64 exec, exec, s[6:7]
	s_mov_b64 s[18:19], 0
	s_barrier
                                        ; implicit-def: $vgpr4_vgpr5
                                        ; implicit-def: $vgpr2_vgpr3
	s_and_saveexec_b64 s[6:7], s[2:3]
	s_cbranch_execz .LBB16_130
; %bb.107:
	s_cmp_gt_i32 s35, 0
	s_cselect_b64 s[18:19], -1, 0
	s_cmp_lt_i32 s35, 1
	s_mov_b32 s22, 1
	s_cbranch_scc1 .LBB16_115
; %bb.108:
	s_cmp_lg_u64 s[28:29], 0
	s_cselect_b64 s[4:5], -1, 0
	s_add_u32 s11, s26, s16
	s_addc_u32 s17, s27, s17
	s_add_u32 s16, s11, 8
	v_cndmask_b32_e64 v0, 0, 1, s[4:5]
	s_addc_u32 s17, s17, 0
	v_mov_b32_e32 v4, 0
	v_cmp_ne_u32_e64 s[4:5], 1, v0
	s_branch .LBB16_110
.LBB16_109:                             ;   in Loop: Header=BB16_110 Depth=1
	s_add_i32 s22, s22, 1
	s_add_u32 s16, s16, 8
	s_addc_u32 s17, s17, 0
	s_cmp_lg_u32 s22, s10
	s_cbranch_scc0 .LBB16_115
.LBB16_110:                             ; =>This Loop Header: Depth=1
                                        ;     Child Loop BB16_111 Depth 2
	s_ashr_i32 s23, s22, 31
	s_add_i32 s11, s22, -1
	s_lshl_b64 s[26:27], s[22:23], 3
	s_add_u32 s36, s8, s26
	s_addc_u32 s37, s9, s27
	global_load_dwordx2 v[0:1], v4, s[36:37] offset:-8
	s_mov_b64 s[38:39], s[16:17]
	s_mov_b32 s27, s22
	s_mov_b32 s26, s11
	s_waitcnt vmcnt(0)
	v_mov_b64_e32 v[2:3], v[0:1]
.LBB16_111:                             ;   Parent Loop BB16_110 Depth=1
                                        ; =>  This Inner Loop Header: Depth=2
	global_load_dwordx2 v[8:9], v4, s[38:39]
	s_waitcnt vmcnt(0)
	v_cmp_lt_f64_e32 vcc, v[8:9], v[2:3]
	s_and_b64 s[42:43], vcc, exec
	s_cselect_b32 s26, s27, s26
	s_add_i32 s27, s27, 1
	s_add_u32 s38, s38, 8
	s_addc_u32 s39, s39, 0
	v_cndmask_b32_e32 v3, v3, v9, vcc
	s_cmp_eq_u32 s10, s27
	v_cndmask_b32_e32 v2, v2, v8, vcc
	s_cbranch_scc0 .LBB16_111
; %bb.112:                              ;   in Loop: Header=BB16_110 Depth=1
	s_cmp_lg_u32 s26, s11
	s_cbranch_scc0 .LBB16_109
; %bb.113:                              ;   in Loop: Header=BB16_110 Depth=1
	s_ashr_i32 s27, s26, 31
	s_lshl_b64 s[38:39], s[26:27], 3
	s_add_u32 s38, s8, s38
	s_addc_u32 s39, s9, s39
	s_and_b64 vcc, exec, s[4:5]
	global_store_dwordx2 v4, v[0:1], s[38:39]
	global_store_dwordx2 v4, v[2:3], s[36:37] offset:-8
	s_cbranch_vccnz .LBB16_109
; %bb.114:                              ;   in Loop: Header=BB16_110 Depth=1
	s_lshl_b64 s[36:37], s[22:23], 2
	s_add_u32 s36, s14, s36
	s_addc_u32 s37, s15, s37
	s_lshl_b64 s[26:27], s[26:27], 2
	s_add_u32 s26, s14, s26
	s_addc_u32 s27, s15, s27
	global_load_dword v0, v4, s[36:37] offset:-4
	global_load_dword v1, v4, s[26:27]
	s_waitcnt vmcnt(1)
	global_store_dword v4, v0, s[26:27]
	s_waitcnt vmcnt(1)
	global_store_dword v4, v1, s[36:37] offset:-4
	s_branch .LBB16_109
.LBB16_115:
	s_ashr_i32 s11, s10, 31
	s_lshl_b64 s[4:5], s[10:11], 3
	v_mov_b32_e32 v0, 0
	s_add_u32 s16, s8, s4
	s_addc_u32 s17, s9, s5
	global_load_dwordx2 v[2:3], v0, s[8:9]
	global_load_dwordx2 v[4:5], v0, s[16:17] offset:-8
	s_load_dwordx2 s[14:15], s[0:1], 0x18
	v_cvt_f64_i32_e32 v[8:9], s35
	v_cndmask_b32_e64 v1, 0, 1, s[18:19]
	v_cmp_ne_u32_e64 s[0:1], 1, v1
	s_andn2_b64 vcc, exec, s[18:19]
	s_waitcnt vmcnt(0)
	v_cmp_lt_f64_e64 s[4:5], |v[2:3]|, |v[4:5]|
	s_nop 1
	v_cndmask_b32_e64 v11, v3, v5, s[4:5]
	v_cndmask_b32_e64 v10, v2, v4, s[4:5]
	v_mul_f64 v[10:11], s[30:31], |v[10:11]|
	v_fma_f64 v[2:3], -v[10:11], v[8:9], v[2:3]
	v_fmac_f64_e32 v[4:5], v[10:11], v[8:9]
	v_add_f64 v[2:3], v[2:3], -v[6:7]
	v_add_f64 v[4:5], v[6:7], v[4:5]
	global_store_dwordx2 v0, v[2:3], s[8:9]
	global_store_dwordx2 v0, v[4:5], s[16:17] offset:-8
	s_cbranch_vccnz .LBB16_121
; %bb.116:
	s_max_i32 s11, s10, 2
	s_add_i32 s11, s11, -1
	s_add_u32 s4, s28, s12
	s_addc_u32 s5, s29, s13
	s_add_u32 s4, s4, 4
	s_addc_u32 s5, s5, 0
	s_mov_b32 s17, 0
	s_branch .LBB16_118
.LBB16_117:                             ;   in Loop: Header=BB16_118 Depth=1
	s_add_i32 s17, s17, 1
	s_add_u32 s4, s4, 4
	s_addc_u32 s5, s5, 0
	s_cmp_eq_u32 s11, s17
	s_cselect_b64 s[18:19], -1, 0
	s_mov_b32 s16, s11
	s_andn2_b64 vcc, exec, s[18:19]
	s_cbranch_vccz .LBB16_120
.LBB16_118:                             ; =>This Inner Loop Header: Depth=1
	global_load_dword v1, v0, s[4:5]
	s_mov_b64 s[18:19], -1
	s_waitcnt vmcnt(0) lgkmcnt(0)
	v_cmp_le_i32_e32 vcc, s14, v1
	s_cbranch_vccz .LBB16_117
; %bb.119:                              ;   in Loop: Header=BB16_118 Depth=1
                                        ; implicit-def: $sgpr4_sgpr5
	s_mov_b32 s16, s17
	s_andn2_b64 vcc, exec, s[18:19]
	s_cbranch_vccnz .LBB16_118
.LBB16_120:
	s_mov_b32 s17, 0
	s_branch .LBB16_122
.LBB16_121:
	s_mov_b64 s[16:17], 0
.LBB16_122:
	s_lshl_b64 s[4:5], s[16:17], 3
	s_add_u32 s4, s8, s4
	s_addc_u32 s5, s9, s5
	v_mov_b32_e32 v0, 0
	global_load_dwordx2 v[2:3], v0, s[4:5]
	s_and_b64 vcc, exec, s[0:1]
	s_mov_b32 s5, 1
	s_cbranch_vccnz .LBB16_128
; %bb.123:
	s_waitcnt lgkmcnt(0)
	s_max_i32 s14, s10, 2
	s_add_i32 s16, s14, -1
	s_add_u32 s0, s28, s12
	s_addc_u32 s1, s29, s13
	s_add_u32 s0, s0, 4
	s_addc_u32 s1, s1, 0
	s_branch .LBB16_125
.LBB16_124:                             ;   in Loop: Header=BB16_125 Depth=1
	s_mov_b32 s4, s5
                                        ; implicit-def: $sgpr0_sgpr1
	s_andn2_b64 vcc, exec, s[10:11]
	s_cbranch_vccz .LBB16_127
.LBB16_125:                             ; =>This Inner Loop Header: Depth=1
	global_load_dword v1, v0, s[0:1]
	s_mov_b64 s[10:11], -1
	s_waitcnt vmcnt(0)
	v_cmp_gt_i32_e32 vcc, s15, v1
	s_cbranch_vccz .LBB16_124
; %bb.126:                              ;   in Loop: Header=BB16_125 Depth=1
	s_add_i32 s5, s5, 1
	s_add_u32 s0, s0, 4
	s_addc_u32 s1, s1, 0
	s_cmp_eq_u32 s14, s5
	s_cselect_b64 s[10:11], -1, 0
	s_mov_b32 s4, s16
	s_andn2_b64 vcc, exec, s[10:11]
	s_cbranch_vccnz .LBB16_125
.LBB16_127:
	s_ashr_i32 s5, s4, 31
	s_branch .LBB16_129
.LBB16_128:
	s_mov_b64 s[4:5], 0
.LBB16_129:
	s_lshl_b64 s[0:1], s[4:5], 3
	s_add_u32 s0, s8, s0
	s_addc_u32 s1, s9, s1
	v_mov_b32_e32 v0, 0
	global_load_dwordx2 v[4:5], v0, s[0:1]
	s_mov_b64 s[18:19], exec
.LBB16_130:
	s_or_b64 exec, exec, s[6:7]
.LBB16_131:
	s_and_saveexec_b64 s[0:1], s[18:19]
	s_cbranch_execz .LBB16_134
; %bb.132:
	s_and_b64 exec, exec, s[2:3]
	s_cbranch_execz .LBB16_134
; %bb.133:
	s_lshl_b64 s[0:1], s[40:41], 3
	s_add_u32 s0, s20, s0
	s_addc_u32 s1, s21, s1
	s_lshl_b32 s2, s40, 1
	s_ashr_i32 s3, s2, 31
	s_lshl_b64 s[2:3], s[2:3], 3
	s_add_u32 s2, s24, s2
	s_addc_u32 s3, s25, s3
	s_cmpk_eq_i32 s34, 0xe7
	v_mov_b32_e32 v0, 0
	s_cselect_b64 s[4:5], -1, 0
	s_waitcnt vmcnt(0)
	v_cndmask_b32_e64 v5, v5, 0, s[4:5]
	v_cndmask_b32_e64 v4, v4, 0, s[4:5]
	;; [unrolled: 1-line block ×4, first 2 shown]
	global_store_dwordx2 v0, v[6:7], s[0:1]
	global_store_dwordx4 v0, v[2:5], s[2:3]
.LBB16_134:
	s_endpgm
	.section	.rodata,"a",@progbits
	.p2align	6, 0x0
	.amdhsa_kernel _ZN9rocsolver6v33100L22stebz_splitting_kernelIdPdEEv15rocblas_erange_iT_S4_iiT0_iiS5_iiPiPS4_lS6_lS6_S7_S7_S7_S7_S6_S4_S4_
		.amdhsa_group_segment_fixed_size 3072
		.amdhsa_private_segment_fixed_size 0
		.amdhsa_kernarg_size 168
		.amdhsa_user_sgpr_count 2
		.amdhsa_user_sgpr_dispatch_ptr 0
		.amdhsa_user_sgpr_queue_ptr 0
		.amdhsa_user_sgpr_kernarg_segment_ptr 1
		.amdhsa_user_sgpr_dispatch_id 0
		.amdhsa_user_sgpr_kernarg_preload_length 0
		.amdhsa_user_sgpr_kernarg_preload_offset 0
		.amdhsa_user_sgpr_private_segment_size 0
		.amdhsa_uses_dynamic_stack 0
		.amdhsa_enable_private_segment 0
		.amdhsa_system_sgpr_workgroup_id_x 1
		.amdhsa_system_sgpr_workgroup_id_y 1
		.amdhsa_system_sgpr_workgroup_id_z 0
		.amdhsa_system_sgpr_workgroup_info 0
		.amdhsa_system_vgpr_workitem_id 0
		.amdhsa_next_free_vgpr 44
		.amdhsa_next_free_sgpr 58
		.amdhsa_accum_offset 44
		.amdhsa_reserve_vcc 1
		.amdhsa_float_round_mode_32 0
		.amdhsa_float_round_mode_16_64 0
		.amdhsa_float_denorm_mode_32 3
		.amdhsa_float_denorm_mode_16_64 3
		.amdhsa_dx10_clamp 1
		.amdhsa_ieee_mode 1
		.amdhsa_fp16_overflow 0
		.amdhsa_tg_split 0
		.amdhsa_exception_fp_ieee_invalid_op 0
		.amdhsa_exception_fp_denorm_src 0
		.amdhsa_exception_fp_ieee_div_zero 0
		.amdhsa_exception_fp_ieee_overflow 0
		.amdhsa_exception_fp_ieee_underflow 0
		.amdhsa_exception_fp_ieee_inexact 0
		.amdhsa_exception_int_div_zero 0
	.end_amdhsa_kernel
	.section	.text._ZN9rocsolver6v33100L22stebz_splitting_kernelIdPdEEv15rocblas_erange_iT_S4_iiT0_iiS5_iiPiPS4_lS6_lS6_S7_S7_S7_S7_S6_S4_S4_,"axG",@progbits,_ZN9rocsolver6v33100L22stebz_splitting_kernelIdPdEEv15rocblas_erange_iT_S4_iiT0_iiS5_iiPiPS4_lS6_lS6_S7_S7_S7_S7_S6_S4_S4_,comdat
.Lfunc_end16:
	.size	_ZN9rocsolver6v33100L22stebz_splitting_kernelIdPdEEv15rocblas_erange_iT_S4_iiT0_iiS5_iiPiPS4_lS6_lS6_S7_S7_S7_S7_S6_S4_S4_, .Lfunc_end16-_ZN9rocsolver6v33100L22stebz_splitting_kernelIdPdEEv15rocblas_erange_iT_S4_iiT0_iiS5_iiPiPS4_lS6_lS6_S7_S7_S7_S7_S6_S4_S4_
                                        ; -- End function
	.set _ZN9rocsolver6v33100L22stebz_splitting_kernelIdPdEEv15rocblas_erange_iT_S4_iiT0_iiS5_iiPiPS4_lS6_lS6_S7_S7_S7_S7_S6_S4_S4_.num_vgpr, 44
	.set _ZN9rocsolver6v33100L22stebz_splitting_kernelIdPdEEv15rocblas_erange_iT_S4_iiT0_iiS5_iiPiPS4_lS6_lS6_S7_S7_S7_S7_S6_S4_S4_.num_agpr, 0
	.set _ZN9rocsolver6v33100L22stebz_splitting_kernelIdPdEEv15rocblas_erange_iT_S4_iiT0_iiS5_iiPiPS4_lS6_lS6_S7_S7_S7_S7_S6_S4_S4_.numbered_sgpr, 58
	.set _ZN9rocsolver6v33100L22stebz_splitting_kernelIdPdEEv15rocblas_erange_iT_S4_iiT0_iiS5_iiPiPS4_lS6_lS6_S7_S7_S7_S7_S6_S4_S4_.num_named_barrier, 0
	.set _ZN9rocsolver6v33100L22stebz_splitting_kernelIdPdEEv15rocblas_erange_iT_S4_iiT0_iiS5_iiPiPS4_lS6_lS6_S7_S7_S7_S7_S6_S4_S4_.private_seg_size, 0
	.set _ZN9rocsolver6v33100L22stebz_splitting_kernelIdPdEEv15rocblas_erange_iT_S4_iiT0_iiS5_iiPiPS4_lS6_lS6_S7_S7_S7_S7_S6_S4_S4_.uses_vcc, 1
	.set _ZN9rocsolver6v33100L22stebz_splitting_kernelIdPdEEv15rocblas_erange_iT_S4_iiT0_iiS5_iiPiPS4_lS6_lS6_S7_S7_S7_S7_S6_S4_S4_.uses_flat_scratch, 0
	.set _ZN9rocsolver6v33100L22stebz_splitting_kernelIdPdEEv15rocblas_erange_iT_S4_iiT0_iiS5_iiPiPS4_lS6_lS6_S7_S7_S7_S7_S6_S4_S4_.has_dyn_sized_stack, 0
	.set _ZN9rocsolver6v33100L22stebz_splitting_kernelIdPdEEv15rocblas_erange_iT_S4_iiT0_iiS5_iiPiPS4_lS6_lS6_S7_S7_S7_S7_S6_S4_S4_.has_recursion, 0
	.set _ZN9rocsolver6v33100L22stebz_splitting_kernelIdPdEEv15rocblas_erange_iT_S4_iiT0_iiS5_iiPiPS4_lS6_lS6_S7_S7_S7_S7_S6_S4_S4_.has_indirect_call, 0
	.section	.AMDGPU.csdata,"",@progbits
; Kernel info:
; codeLenInByte = 6300
; TotalNumSgprs: 64
; NumVgprs: 44
; NumAgprs: 0
; TotalNumVgprs: 44
; ScratchSize: 0
; MemoryBound: 0
; FloatMode: 240
; IeeeMode: 1
; LDSByteSize: 3072 bytes/workgroup (compile time only)
; SGPRBlocks: 7
; VGPRBlocks: 5
; NumSGPRsForWavesPerEU: 64
; NumVGPRsForWavesPerEU: 44
; AccumOffset: 44
; Occupancy: 8
; WaveLimiterHint : 0
; COMPUTE_PGM_RSRC2:SCRATCH_EN: 0
; COMPUTE_PGM_RSRC2:USER_SGPR: 2
; COMPUTE_PGM_RSRC2:TRAP_HANDLER: 0
; COMPUTE_PGM_RSRC2:TGID_X_EN: 1
; COMPUTE_PGM_RSRC2:TGID_Y_EN: 1
; COMPUTE_PGM_RSRC2:TGID_Z_EN: 0
; COMPUTE_PGM_RSRC2:TIDIG_COMP_CNT: 0
; COMPUTE_PGM_RSRC3_GFX90A:ACCUM_OFFSET: 10
; COMPUTE_PGM_RSRC3_GFX90A:TG_SPLIT: 0
	.section	.text._ZN9rocsolver6v33100L22stebz_bisection_kernelIdPdEEv15rocblas_erange_iT_T0_iiS5_iiPiPS4_lS6_lS6_lS6_S6_S7_S7_S7_S7_S6_S4_S4_,"axG",@progbits,_ZN9rocsolver6v33100L22stebz_bisection_kernelIdPdEEv15rocblas_erange_iT_T0_iiS5_iiPiPS4_lS6_lS6_lS6_S6_S7_S7_S7_S7_S6_S4_S4_,comdat
	.globl	_ZN9rocsolver6v33100L22stebz_bisection_kernelIdPdEEv15rocblas_erange_iT_T0_iiS5_iiPiPS4_lS6_lS6_lS6_S6_S7_S7_S7_S7_S6_S4_S4_ ; -- Begin function _ZN9rocsolver6v33100L22stebz_bisection_kernelIdPdEEv15rocblas_erange_iT_T0_iiS5_iiPiPS4_lS6_lS6_lS6_S6_S7_S7_S7_S7_S6_S4_S4_
	.p2align	8
	.type	_ZN9rocsolver6v33100L22stebz_bisection_kernelIdPdEEv15rocblas_erange_iT_T0_iiS5_iiPiPS4_lS6_lS6_lS6_S6_S7_S7_S7_S7_S6_S4_S4_,@function
_ZN9rocsolver6v33100L22stebz_bisection_kernelIdPdEEv15rocblas_erange_iT_T0_iiS5_iiPiPS4_lS6_lS6_lS6_S6_S7_S7_S7_S7_S6_S4_S4_: ; @_ZN9rocsolver6v33100L22stebz_bisection_kernelIdPdEEv15rocblas_erange_iT_T0_iiS5_iiPiPS4_lS6_lS6_lS6_S6_S7_S7_S7_S7_S6_S4_S4_
; %bb.0:
	s_load_dwordx16 s[4:19], s[0:1], 0x30
	s_mov_b32 s30, s3
	s_ashr_i32 s31, s3, 31
	s_lshl_b64 s[34:35], s[30:31], 2
	s_waitcnt lgkmcnt(0)
	s_add_u32 s4, s4, s34
	s_addc_u32 s5, s5, s35
	s_load_dword s33, s[4:5], 0x0
	s_waitcnt lgkmcnt(0)
	s_cmp_ge_i32 s2, s33
	s_cbranch_scc1 .LBB17_91
; %bb.1:
	s_load_dwordx8 s[20:27], s[0:1], 0x8
	s_load_dwordx2 s[28:29], s[0:1], 0x0
	s_load_dwordx2 s[4:5], s[0:1], 0x28
	s_load_dwordx8 s[36:43], s[0:1], 0x90
	s_load_dwordx8 s[44:51], s[0:1], 0x70
	s_waitcnt lgkmcnt(0)
	s_mul_hi_i32 s43, s25, s30
	s_mul_i32 s42, s25, s30
	s_ashr_i32 s1, s24, 31
	s_lshl_b64 s[52:53], s[42:43], 3
	s_mov_b32 s0, s24
	s_add_u32 s3, s22, s52
	s_addc_u32 s24, s23, s53
	s_lshl_b64 s[54:55], s[0:1], 3
	s_add_u32 s62, s3, s54
	s_addc_u32 s63, s24, s55
	s_mul_hi_i32 s25, s5, s30
	s_mul_i32 s24, s5, s30
	s_ashr_i32 s1, s4, 31
	s_lshl_b64 s[56:57], s[24:25], 3
	s_mov_b32 s0, s4
	s_add_u32 s3, s26, s56
	s_addc_u32 s4, s27, s57
	s_lshl_b64 s[58:59], s[0:1], 3
	s_add_u32 s64, s3, s58
	s_mul_i32 s0, s8, s31
	s_mul_hi_u32 s1, s8, s30
	s_addc_u32 s65, s4, s59
	s_add_i32 s0, s1, s0
	s_mul_i32 s1, s9, s30
	s_add_i32 s1, s0, s1
	s_mul_i32 s0, s8, s30
	s_lshl_b64 s[0:1], s[0:1], 3
	s_add_u32 s66, s6, s0
	s_addc_u32 s67, s7, s1
	s_mul_i32 s0, s12, s31
	s_mul_hi_u32 s1, s12, s30
	s_add_i32 s0, s1, s0
	s_mul_i32 s1, s13, s30
	s_add_i32 s1, s0, s1
	s_mul_i32 s0, s12, s30
	s_lshl_b64 s[0:1], s[0:1], 2
	s_add_u32 s68, s10, s0
	s_addc_u32 s69, s11, s1
	s_mul_i32 s0, s16, s31
	s_mul_hi_u32 s1, s16, s30
	s_add_i32 s0, s1, s0
	s_mul_i32 s1, s17, s30
	s_add_i32 s1, s0, s1
	s_mul_i32 s0, s16, s30
	s_lshl_b64 s[0:1], s[0:1], 2
	s_add_u32 s70, s14, s0
	s_addc_u32 s71, s15, s1
	s_add_i32 s0, s29, -1
	s_mul_i32 s0, s0, s30
	s_ashr_i32 s1, s0, 31
	s_lshl_b64 s[0:1], s[0:1], 3
	s_add_u32 s72, s48, s0
	s_addc_u32 s73, s49, s1
	s_lshl_b32 s0, s30, 1
	s_ashr_i32 s1, s0, 31
	s_lshl_b64 s[0:1], s[0:1], 3
	s_add_u32 s16, s50, s0
	s_addc_u32 s17, s51, s1
	s_lshl_b64 s[0:1], s[30:31], 3
	s_add_u32 s0, s46, s0
	s_addc_u32 s1, s47, s1
	s_load_dwordx2 s[24:25], s[0:1], 0x0
	s_add_u32 s18, s18, s34
	s_mul_i32 s0, s29, s30
	s_addc_u32 s19, s19, s35
	s_lshl_b32 s4, s0, 2
	s_ashr_i32 s5, s4, 31
	s_lshl_b64 s[6:7], s[4:5], 3
	s_add_u32 s30, s36, s6
	s_addc_u32 s31, s37, s7
	s_lshl_b64 s[4:5], s[4:5], 2
	s_add_u32 s34, s38, s4
	s_addc_u32 s35, s39, s5
	s_mov_b32 s38, 0x55555555
	s_waitcnt lgkmcnt(0)
	v_frexp_mant_f64_e32 v[2:3], s[24:25]
	s_mov_b32 s39, 0x3fe55555
	v_cmp_gt_f64_e32 vcc, s[38:39], v[2:3]
	s_mov_b32 s42, 0xbf559e2b
	s_mov_b32 s43, 0x3fc3ab76
	v_cndmask_b32_e64 v4, 0, 1, vcc
	v_ldexp_f64 v[2:3], v[2:3], v4
	v_add_f64 v[4:5], v[2:3], 1.0
	v_rcp_f64_e32 v[6:7], v[4:5]
	v_add_f64 v[10:11], v[4:5], -1.0
	v_add_f64 v[8:9], v[2:3], -1.0
	v_add_f64 v[2:3], v[2:3], -v[10:11]
	v_fma_f64 v[10:11], -v[4:5], v[6:7], 1.0
	v_fmac_f64_e32 v[6:7], v[10:11], v[6:7]
	v_fma_f64 v[10:11], -v[4:5], v[6:7], 1.0
	v_fmac_f64_e32 v[6:7], v[10:11], v[6:7]
	v_mul_f64 v[10:11], v[8:9], v[6:7]
	v_mul_f64 v[12:13], v[4:5], v[10:11]
	v_fma_f64 v[4:5], v[10:11], v[4:5], -v[12:13]
	v_fmac_f64_e32 v[4:5], v[10:11], v[2:3]
	v_add_f64 v[2:3], v[12:13], v[4:5]
	v_add_f64 v[14:15], v[8:9], -v[2:3]
	v_add_f64 v[12:13], v[2:3], -v[12:13]
	v_add_f64 v[8:9], v[8:9], -v[14:15]
	v_add_f64 v[2:3], v[8:9], -v[2:3]
	v_add_f64 v[4:5], v[12:13], -v[4:5]
	v_add_f64 v[2:3], v[4:5], v[2:3]
	v_add_f64 v[2:3], v[14:15], v[2:3]
	v_mul_f64 v[2:3], v[6:7], v[2:3]
	v_add_f64 v[4:5], v[10:11], v[2:3]
	v_add_f64 v[6:7], v[4:5], -v[10:11]
	v_mov_b32_e32 v14, 0x6b47b09a
	v_mov_b32_e32 v15, 0x3fc38538
	v_add_f64 v[2:3], v[2:3], -v[6:7]
	v_mul_f64 v[6:7], v[4:5], v[4:5]
	v_mov_b64_e32 v[8:9], v[14:15]
	v_mov_b32_e32 v16, 0xd7f4df2e
	v_mov_b32_e32 v17, 0x3fc7474d
	v_fmac_f64_e32 v[8:9], s[42:43], v[6:7]
	v_mov_b64_e32 v[10:11], v[16:17]
	v_mov_b32_e32 v18, 0x16291751
	v_mov_b32_e32 v19, 0x3fcc71c0
	v_fmac_f64_e32 v[10:11], v[6:7], v[8:9]
	;; [unrolled: 4-line block ×5, first 2 shown]
	v_mov_b64_e32 v[10:11], v[24:25]
	v_fmac_f64_e32 v[10:11], v[6:7], v[8:9]
	v_ldexp_f64 v[8:9], v[4:5], 1
	v_mul_f64 v[4:5], v[4:5], v[6:7]
	v_mul_f64 v[4:5], v[4:5], v[10:11]
	v_add_f64 v[6:7], v[8:9], v[4:5]
	v_add_f64 v[8:9], v[6:7], -v[8:9]
	s_ashr_i32 s1, s0, 31
	v_ldexp_f64 v[2:3], v[2:3], 1
	v_add_f64 v[4:5], v[4:5], -v[8:9]
	s_lshl_b64 s[0:1], s[0:1], 2
	v_add_f64 v[2:3], v[2:3], v[4:5]
	s_add_u32 s74, s44, s0
	v_frexp_exp_i32_f64_e32 v1, s[24:25]
	v_add_f64 v[4:5], v[6:7], v[2:3]
	s_addc_u32 s75, s45, s1
	v_subbrev_co_u32_e32 v1, vcc, 0, v1, vcc
	v_add_f64 v[6:7], v[4:5], -v[6:7]
	s_mov_b32 s44, 0xfefa39ef
	v_add_f64 v[2:3], v[2:3], -v[6:7]
	v_cvt_f64_i32_e32 v[6:7], v1
	s_mov_b32 s45, 0x3fe62e42
	v_mul_f64 v[8:9], v[6:7], s[44:45]
	s_mov_b32 s46, 0x3b39803f
	v_fma_f64 v[10:11], v[6:7], s[44:45], -v[8:9]
	s_mov_b32 s47, 0x3c7abc9e
	v_fmac_f64_e32 v[10:11], s[46:47], v[6:7]
	v_add_f64 v[6:7], v[8:9], v[10:11]
	v_add_f64 v[8:9], v[6:7], -v[8:9]
	v_add_f64 v[8:9], v[10:11], -v[8:9]
	v_add_f64 v[10:11], v[6:7], v[4:5]
	v_add_f64 v[12:13], v[10:11], -v[6:7]
	v_add_f64 v[26:27], v[10:11], -v[12:13]
	s_cmpk_lg_i32 s28, 0xe7
	v_add_f64 v[6:7], v[6:7], -v[26:27]
	v_add_f64 v[4:5], v[4:5], -v[12:13]
	s_cselect_b64 s[36:37], -1, 0
	v_add_f64 v[4:5], v[4:5], v[6:7]
	v_add_f64 v[6:7], v[8:9], v[2:3]
	s_add_u32 s3, s52, s54
	v_add_f64 v[12:13], v[6:7], -v[8:9]
	s_addc_u32 s12, s53, s55
	v_add_f64 v[26:27], v[6:7], -v[12:13]
	v_add_f64 v[4:5], v[6:7], v[4:5]
	s_add_u32 s3, s22, s3
	v_add_f64 v[8:9], v[8:9], -v[26:27]
	v_add_f64 v[2:3], v[2:3], -v[12:13]
	v_add_f64 v[6:7], v[10:11], v[4:5]
	s_addc_u32 s12, s23, s12
	v_add_f64 v[2:3], v[2:3], v[8:9]
	v_add_f64 v[8:9], v[6:7], -v[10:11]
	s_add_u32 s76, s3, 8
	v_add_f64 v[4:5], v[4:5], -v[8:9]
	s_addc_u32 s77, s12, 0
	v_add_f64 v[2:3], v[2:3], v[4:5]
	v_mov_b32_e32 v1, 0x204
	s_add_u32 s3, s56, s58
	v_add_f64 v[2:3], v[6:7], v[2:3]
	v_mov_b32_e32 v4, s24
	v_cmp_class_f64_e32 vcc, s[24:25], v1
	v_mov_b32_e32 v1, s25
	s_addc_u32 s12, s57, s59
	v_cndmask_b32_e32 v2, v2, v4, vcc
	v_cndmask_b32_e32 v3, v3, v1, vcc
	v_mov_b32_e32 v1, 0x7ff80000
	v_cmp_nlt_f64_e64 vcc, s[24:25], 0
	s_add_u32 s3, s26, s3
	s_addc_u32 s12, s27, s12
	v_cndmask_b32_e32 v3, v1, v3, vcc
	v_cmp_nle_f64_e64 vcc, s[24:25], 0
	v_mov_b32_e32 v32, 0xfff00000
	v_mov_b32_e32 v33, 0x1800
	v_cndmask_b32_e32 v26, 0, v2, vcc
	v_cmp_neq_f64_e64 vcc, s[24:25], 0
	v_mov_b32_e32 v2, 0x1000
	v_and_b32_e32 v37, 0x7c, v0
	s_add_u32 s78, s3, 8
	v_cmp_lt_f64_e64 s[0:1], s[20:21], 0
	v_cmp_eq_u32_e64 s[4:5], 0, v0
	v_cmp_ne_u32_e64 s[6:7], 0, v0
	s_movk_i32 s28, 0x204
	v_cndmask_b32_e32 v27, v32, v3, vcc
	v_lshl_or_b32 v34, v0, 2, v33
	v_lshlrev_b32_e32 v35, 5, v0
	v_lshl_or_b32 v36, v0, 4, v2
	v_add_f64 v[28:29], s[40:41], s[40:41]
	v_cmp_lt_u32_e64 s[8:9], 3, v0
	v_cmp_ne_u32_e64 s[10:11], v0, v37
	s_addc_u32 s79, s12, 0
	v_mov_b32_e32 v38, 0
	v_mov_b32_e32 v39, 1
                                        ; implicit-def: $sgpr80
                                        ; implicit-def: $sgpr81
                                        ; implicit-def: $sgpr82
                                        ; implicit-def: $sgpr83
                                        ; implicit-def: $vgpr40
	s_branch .LBB17_4
.LBB17_2:                               ;   in Loop: Header=BB17_4 Depth=1
	s_or_b64 exec, exec, s[12:13]
	v_mov_b32_e32 v5, v40
	s_mov_b32 s84, s83
	s_mov_b32 s3, s82
	;; [unrolled: 1-line block ×4, first 2 shown]
.LBB17_3:                               ;   in Loop: Header=BB17_4 Depth=1
	s_add_i32 s2, s2, 64
	s_cmp_lt_i32 s2, s33
	s_mov_b32 s80, s23
	s_mov_b32 s81, s85
	;; [unrolled: 1-line block ×4, first 2 shown]
	v_mov_b32_e32 v40, v5
	s_barrier
	s_cbranch_scc0 .LBB17_91
.LBB17_4:                               ; =>This Loop Header: Depth=1
                                        ;     Child Loop BB17_9 Depth 2
                                        ;     Child Loop BB17_20 Depth 2
	;; [unrolled: 1-line block ×4, first 2 shown]
                                        ;       Child Loop BB17_37 Depth 3
                                        ;         Child Loop BB17_40 Depth 4
                                        ;         Child Loop BB17_54 Depth 4
	;; [unrolled: 1-line block ×3, first 2 shown]
                                        ;     Child Loop BB17_75 Depth 2
                                        ;       Child Loop BB17_77 Depth 3
	s_ashr_i32 s3, s2, 31
	s_cmp_eq_u32 s2, 0
	s_mov_b32 s22, 0
	s_cbranch_scc1 .LBB17_6
; %bb.5:                                ;   in Loop: Header=BB17_4 Depth=1
	s_lshl_b64 s[12:13], s[2:3], 2
	s_add_u32 s12, s70, s12
	s_addc_u32 s13, s71, s13
	global_load_dword v2, v38, s[12:13] offset:-4
	s_waitcnt vmcnt(0)
	v_readfirstlane_b32 s22, v2
.LBB17_6:                               ;   in Loop: Header=BB17_4 Depth=1
	s_lshl_b64 s[26:27], s[2:3], 2
	s_add_u32 s12, s70, s26
	s_addc_u32 s13, s71, s27
	global_load_dword v2, v38, s[12:13]
	s_waitcnt vmcnt(0)
	v_readfirstlane_b32 s85, v2
	s_sub_i32 s50, s85, s22
	s_cmp_lg_u32 s50, 1
	s_cbranch_scc0 .LBB17_69
; %bb.7:                                ;   in Loop: Header=BB17_4 Depth=1
	s_ashr_i32 s23, s22, 31
	s_lshl_b64 s[52:53], s[22:23], 3
	s_add_u32 s48, s62, s52
	s_addc_u32 s49, s63, s53
	s_add_u32 s12, s64, s52
	s_addc_u32 s13, s65, s53
	global_load_dwordx2 v[4:5], v38, s[12:13]
	global_load_dwordx2 v[10:11], v38, s[48:49]
	s_cmp_lt_i32 s50, 3
	s_waitcnt vmcnt(1)
	v_and_b32_e32 v7, 0x7fffffff, v5
	v_mov_b32_e32 v6, v4
	s_waitcnt vmcnt(0)
	v_add_f64 v[2:3], v[10:11], -|v[4:5]|
	v_add_f64 v[4:5], v[10:11], |v[4:5]|
	s_cbranch_scc1 .LBB17_10
; %bb.8:                                ;   in Loop: Header=BB17_4 Depth=1
	s_add_i32 s3, s50, -2
	s_add_u32 s14, s76, s52
	s_addc_u32 s15, s77, s53
	s_add_u32 s54, s78, s52
	s_addc_u32 s55, s79, s53
.LBB17_9:                               ;   Parent Loop BB17_4 Depth=1
                                        ; =>  This Inner Loop Header: Depth=2
	global_load_dwordx2 v[8:9], v38, s[14:15]
	global_load_dwordx2 v[12:13], v38, s[54:55]
	s_add_i32 s3, s3, -1
	v_mov_b64_e32 v[30:31], v[6:7]
	s_add_u32 s14, s14, 8
	s_addc_u32 s15, s15, 0
	s_add_u32 s54, s54, 8
	s_addc_u32 s55, s55, 0
	s_cmp_lg_u32 s3, 0
	s_waitcnt vmcnt(1)
	v_add_f64 v[42:43], v[8:9], -v[30:31]
	v_add_f64 v[8:9], v[30:31], v[8:9]
	s_waitcnt vmcnt(0)
	v_add_f64 v[30:31], v[42:43], -|v[12:13]|
	v_add_f64 v[8:9], v[8:9], |v[12:13]|
	v_cmp_lt_f64_e32 vcc, v[30:31], v[2:3]
	v_cmp_lt_f64_e64 s[12:13], v[4:5], v[8:9]
	v_and_b32_e32 v7, 0x7fffffff, v13
	v_mov_b32_e32 v6, v12
	v_cndmask_b32_e32 v3, v3, v31, vcc
	v_cndmask_b32_e64 v5, v5, v9, s[12:13]
	v_cndmask_b32_e32 v2, v2, v30, vcc
	v_cndmask_b32_e64 v4, v4, v8, s[12:13]
	s_cbranch_scc1 .LBB17_9
.LBB17_10:                              ;   in Loop: Header=BB17_4 Depth=1
	s_ashr_i32 s51, s50, 31
	s_lshl_b64 s[12:13], s[50:51], 3
	s_add_u32 s12, s48, s12
	s_addc_u32 s13, s49, s13
	global_load_dwordx2 v[8:9], v38, s[12:13] offset:-8
	v_cvt_f64_i32_e32 v[12:13], s50
	s_andn2_b64 vcc, exec, s[36:37]
	s_waitcnt vmcnt(0)
	v_add_f64 v[30:31], v[8:9], -v[6:7]
	v_add_f64 v[6:7], v[6:7], v[8:9]
	v_cmp_lt_f64_e64 s[12:13], v[30:31], v[2:3]
	v_cmp_lt_f64_e64 s[14:15], v[4:5], v[6:7]
	s_nop 0
	v_cndmask_b32_e64 v9, v3, v31, s[12:13]
	v_cndmask_b32_e64 v5, v5, v7, s[14:15]
	;; [unrolled: 1-line block ×4, first 2 shown]
	v_cmp_lt_f64_e64 s[12:13], |v[8:9]|, |v[4:5]|
	s_nop 1
	v_cndmask_b32_e64 v3, v9, v5, s[12:13]
	v_cndmask_b32_e64 v2, v8, v4, s[12:13]
	v_mul_f64 v[2:3], s[40:41], |v[2:3]|
	v_fma_f64 v[6:7], -v[2:3], v[12:13], v[8:9]
	v_fmac_f64_e32 v[4:5], v[2:3], v[12:13]
	v_add_f64 v[6:7], v[6:7], -s[24:25]
	v_add_f64 v[8:9], s[24:25], v[4:5]
	s_cbranch_vccnz .LBB17_12
; %bb.11:                               ;   in Loop: Header=BB17_4 Depth=1
	global_load_dwordx4 v[42:45], v38, s[16:17]
	s_waitcnt vmcnt(0)
	v_cmp_lt_f64_e32 vcc, v[6:7], v[42:43]
	v_cmp_lt_f64_e64 s[12:13], v[44:45], v[8:9]
	s_nop 0
	v_cndmask_b32_e32 v7, v7, v43, vcc
	v_cndmask_b32_e32 v6, v6, v42, vcc
	v_cndmask_b32_e64 v9, v9, v45, s[12:13]
	v_cndmask_b32_e64 v8, v8, v44, s[12:13]
.LBB17_12:                              ;   in Loop: Header=BB17_4 Depth=1
	v_cmp_nlt_f64_e32 vcc, v[6:7], v[8:9]
	s_mov_b64 s[12:13], -1
	s_cbranch_vccz .LBB17_16
; %bb.13:                               ;   in Loop: Header=BB17_4 Depth=1
	s_and_saveexec_b64 s[12:13], s[4:5]
	s_cbranch_execz .LBB17_15
; %bb.14:                               ;   in Loop: Header=BB17_4 Depth=1
	s_add_u32 s14, s74, s26
	s_addc_u32 s15, s75, s27
	ds_write_b16 v38, v38 offset:6660
	global_store_dword v38, v38, s[14:15]
.LBB17_15:                              ;   in Loop: Header=BB17_4 Depth=1
	s_or_b64 exec, exec, s[12:13]
	s_mov_b64 s[12:13], 0
.LBB17_16:                              ;   in Loop: Header=BB17_4 Depth=1
	s_andn2_b64 vcc, exec, s[12:13]
	v_mov_b32_e32 v5, v40
	s_mov_b32 s84, s83
	s_mov_b32 s3, s82
	;; [unrolled: 1-line block ×3, first 2 shown]
	s_cbranch_vccnz .LBB17_29
; %bb.17:                               ;   in Loop: Header=BB17_4 Depth=1
	v_add_f64 v[4:5], v[8:9], -v[6:7]
	v_add_f64 v[4:5], s[24:25], v[4:5]
	v_frexp_mant_f64_e32 v[12:13], v[4:5]
	v_cmp_gt_f64_e32 vcc, s[38:39], v[12:13]
	v_frexp_exp_i32_f64_e32 v30, v[4:5]
	s_nop 0
	v_cndmask_b32_e64 v31, 0, 1, vcc
	v_ldexp_f64 v[12:13], v[12:13], v31
	v_subbrev_co_u32_e32 v41, vcc, 0, v30, vcc
	v_add_f64 v[30:31], v[12:13], 1.0
	v_rcp_f64_e32 v[42:43], v[30:31]
	v_add_f64 v[46:47], v[30:31], -1.0
	v_add_f64 v[44:45], v[12:13], -1.0
	v_add_f64 v[12:13], v[12:13], -v[46:47]
	v_fma_f64 v[46:47], -v[30:31], v[42:43], 1.0
	v_fmac_f64_e32 v[42:43], v[46:47], v[42:43]
	v_fma_f64 v[46:47], -v[30:31], v[42:43], 1.0
	v_fmac_f64_e32 v[42:43], v[46:47], v[42:43]
	v_mul_f64 v[46:47], v[44:45], v[42:43]
	v_mul_f64 v[48:49], v[30:31], v[46:47]
	v_fma_f64 v[30:31], v[46:47], v[30:31], -v[48:49]
	v_fmac_f64_e32 v[30:31], v[46:47], v[12:13]
	v_add_f64 v[12:13], v[48:49], v[30:31]
	v_add_f64 v[50:51], v[44:45], -v[12:13]
	v_add_f64 v[48:49], v[12:13], -v[48:49]
	;; [unrolled: 1-line block ×5, first 2 shown]
	v_add_f64 v[12:13], v[30:31], v[12:13]
	v_add_f64 v[12:13], v[50:51], v[12:13]
	v_mul_f64 v[12:13], v[42:43], v[12:13]
	v_add_f64 v[30:31], v[46:47], v[12:13]
	v_add_f64 v[42:43], v[30:31], -v[46:47]
	v_add_f64 v[12:13], v[12:13], -v[42:43]
	v_mul_f64 v[42:43], v[30:31], v[30:31]
	v_mov_b64_e32 v[44:45], v[14:15]
	v_fmac_f64_e32 v[44:45], s[42:43], v[42:43]
	v_mov_b64_e32 v[46:47], v[16:17]
	v_fmac_f64_e32 v[46:47], v[42:43], v[44:45]
	v_mov_b64_e32 v[44:45], v[18:19]
	v_fmac_f64_e32 v[44:45], v[42:43], v[46:47]
	v_mov_b64_e32 v[46:47], v[20:21]
	v_fmac_f64_e32 v[46:47], v[42:43], v[44:45]
	v_mov_b64_e32 v[44:45], v[22:23]
	v_fmac_f64_e32 v[44:45], v[42:43], v[46:47]
	v_mov_b64_e32 v[46:47], v[24:25]
	v_fmac_f64_e32 v[46:47], v[42:43], v[44:45]
	v_ldexp_f64 v[44:45], v[30:31], 1
	v_mul_f64 v[30:31], v[30:31], v[42:43]
	v_mul_f64 v[30:31], v[30:31], v[46:47]
	v_add_f64 v[42:43], v[44:45], v[30:31]
	v_add_f64 v[44:45], v[42:43], -v[44:45]
	v_ldexp_f64 v[12:13], v[12:13], 1
	v_add_f64 v[30:31], v[30:31], -v[44:45]
	v_add_f64 v[12:13], v[12:13], v[30:31]
	v_add_f64 v[30:31], v[42:43], v[12:13]
	v_add_f64 v[42:43], v[30:31], -v[42:43]
	v_add_f64 v[12:13], v[12:13], -v[42:43]
	v_cvt_f64_i32_e32 v[42:43], v41
	v_mul_f64 v[44:45], v[42:43], s[44:45]
	v_fma_f64 v[46:47], v[42:43], s[44:45], -v[44:45]
	v_fmac_f64_e32 v[46:47], s[46:47], v[42:43]
	v_add_f64 v[42:43], v[44:45], v[46:47]
	v_add_f64 v[44:45], v[42:43], -v[44:45]
	v_add_f64 v[44:45], v[46:47], -v[44:45]
	v_add_f64 v[46:47], v[42:43], v[30:31]
	v_add_f64 v[48:49], v[46:47], -v[42:43]
	v_add_f64 v[50:51], v[46:47], -v[48:49]
	;; [unrolled: 1-line block ×4, first 2 shown]
	v_add_f64 v[30:31], v[30:31], v[42:43]
	v_add_f64 v[42:43], v[44:45], v[12:13]
	v_add_f64 v[48:49], v[42:43], -v[44:45]
	v_add_f64 v[50:51], v[42:43], -v[48:49]
	v_add_f64 v[30:31], v[42:43], v[30:31]
	v_add_f64 v[44:45], v[44:45], -v[50:51]
	v_add_f64 v[12:13], v[12:13], -v[48:49]
	v_add_f64 v[42:43], v[46:47], v[30:31]
	v_add_f64 v[12:13], v[12:13], v[44:45]
	v_add_f64 v[44:45], v[42:43], -v[46:47]
	v_add_f64 v[30:31], v[30:31], -v[44:45]
	v_add_f64 v[12:13], v[12:13], v[30:31]
	v_add_f64 v[12:13], v[42:43], v[12:13]
	v_cmp_class_f64_e64 vcc, v[4:5], s28
	s_nop 1
	v_cndmask_b32_e32 v12, v12, v4, vcc
	v_cndmask_b32_e32 v13, v13, v5, vcc
	v_cmp_ngt_f64_e32 vcc, 0, v[4:5]
	s_nop 1
	v_cndmask_b32_e32 v13, v1, v13, vcc
	v_cmp_nge_f64_e32 vcc, 0, v[4:5]
	s_nop 1
	v_cndmask_b32_e32 v12, 0, v12, vcc
	v_cmp_neq_f64_e32 vcc, 0, v[4:5]
	s_nop 1
	v_cndmask_b32_e32 v13, v32, v13, vcc
	v_add_f64 v[4:5], v[12:13], -v[26:27]
	v_div_scale_f64 v[12:13], s[12:13], s[44:45], s[44:45], v[4:5]
	v_rcp_f64_e32 v[30:31], v[12:13]
	s_nop 0
	v_fma_f64 v[42:43], -v[12:13], v[30:31], 1.0
	v_fmac_f64_e32 v[30:31], v[30:31], v[42:43]
	v_fma_f64 v[42:43], -v[12:13], v[30:31], 1.0
	v_fmac_f64_e32 v[30:31], v[30:31], v[42:43]
	v_div_scale_f64 v[42:43], vcc, v[4:5], s[44:45], v[4:5]
	v_mul_f64 v[44:45], v[42:43], v[30:31]
	v_fma_f64 v[12:13], -v[12:13], v[44:45], v[42:43]
	s_nop 1
	v_div_fmas_f64 v[12:13], v[12:13], v[30:31], v[44:45]
	v_div_fixup_f64 v[4:5], v[12:13], s[44:45], v[4:5]
	v_cvt_i32_f64_e32 v4, v[4:5]
	v_mov_b32_e32 v5, v40
	v_readfirstlane_b32 s3, v4
	s_and_saveexec_b64 s[14:15], s[4:5]
	s_cbranch_execz .LBB17_28
; %bb.18:                               ;   in Loop: Header=BB17_4 Depth=1
	s_add_u32 s54, s72, s52
	s_addc_u32 s55, s73, s53
	v_add_f64 v[12:13], v[10:11], -v[6:7]
	s_cmp_gt_i32 s50, 1
	v_cmp_ge_f64_e32 vcc, s[24:25], v[12:13]
	s_cselect_b64 s[56:57], -1, 0
	s_cmp_lt_i32 s50, 2
	v_cndmask_b32_e64 v4, 0, 1, vcc
	ds_write_b8 v38, v38 offset:6661
	s_cbranch_scc1 .LBB17_21
; %bb.19:                               ;   in Loop: Header=BB17_4 Depth=1
	v_cmp_gt_f64_e64 s[12:13], v[12:13], -s[24:25]
	s_xor_b32 s23, s25, 0x80000000
	s_and_b64 vcc, vcc, s[12:13]
	s_not_b32 s12, s22
	v_mov_b32_e32 v5, s23
	s_add_i32 s51, s12, s85
	v_cndmask_b32_e32 v13, v13, v5, vcc
	v_mov_b32_e32 v5, s24
	s_add_u32 s58, s76, s52
	v_cndmask_b32_e32 v12, v12, v5, vcc
	s_addc_u32 s59, s77, s53
	s_mov_b64 s[60:61], s[54:55]
.LBB17_20:                              ;   Parent Loop BB17_4 Depth=1
                                        ; =>  This Inner Loop Header: Depth=2
	global_load_dwordx2 v[30:31], v38, s[58:59]
	global_load_dwordx2 v[42:43], v38, s[60:61]
	s_add_i32 s51, s51, -1
	v_mov_b32_e32 v5, s23
	v_mov_b32_e32 v41, s24
	s_waitcnt vmcnt(1)
	v_add_f64 v[30:31], v[30:31], -v[6:7]
	s_waitcnt vmcnt(0)
	v_div_scale_f64 v[44:45], s[12:13], v[12:13], v[12:13], v[42:43]
	v_rcp_f64_e32 v[48:49], v[44:45]
	v_div_scale_f64 v[46:47], vcc, v[42:43], v[12:13], v[42:43]
	v_fma_f64 v[50:51], -v[44:45], v[48:49], 1.0
	v_fmac_f64_e32 v[48:49], v[48:49], v[50:51]
	v_fma_f64 v[50:51], -v[44:45], v[48:49], 1.0
	v_fmac_f64_e32 v[48:49], v[48:49], v[50:51]
	v_mul_f64 v[50:51], v[46:47], v[48:49]
	v_fma_f64 v[44:45], -v[44:45], v[50:51], v[46:47]
	v_div_fmas_f64 v[44:45], v[44:45], v[48:49], v[50:51]
	v_div_fixup_f64 v[12:13], v[44:45], v[12:13], v[42:43]
	v_add_f64 v[12:13], v[30:31], -v[12:13]
	v_cmp_gt_f64_e64 s[86:87], v[12:13], -s[24:25]
	v_cmp_ge_f64_e32 vcc, s[24:25], v[12:13]
	s_nop 1
	v_addc_co_u32_e64 v4, s[12:13], 0, v4, vcc
	s_and_b64 vcc, vcc, s[86:87]
	s_add_u32 s58, s58, 8
	s_addc_u32 s59, s59, 0
	s_add_u32 s60, s60, 8
	s_addc_u32 s61, s61, 0
	v_cndmask_b32_e32 v13, v13, v5, vcc
	s_cmp_lg_u32 s51, 0
	v_cndmask_b32_e32 v12, v12, v41, vcc
	s_cbranch_scc1 .LBB17_20
.LBB17_21:                              ;   in Loop: Header=BB17_4 Depth=1
	v_add_f64 v[10:11], v[10:11], -v[8:9]
	v_cmp_ge_f64_e64 s[12:13], s[24:25], v[10:11]
	s_andn2_b64 vcc, exec, s[56:57]
	s_nop 0
	v_cndmask_b32_e64 v5, 0, 1, s[12:13]
	s_cbranch_vccnz .LBB17_24
; %bb.22:                               ;   in Loop: Header=BB17_4 Depth=1
	v_cmp_gt_f64_e64 s[56:57], v[10:11], -s[24:25]
	s_xor_b32 s23, s25, 0x80000000
	s_and_b64 vcc, s[12:13], s[56:57]
	s_not_b32 s12, s22
	v_mov_b32_e32 v12, s23
	s_add_i32 s51, s12, s85
	v_cndmask_b32_e32 v11, v11, v12, vcc
	v_mov_b32_e32 v12, s24
	s_add_u32 s56, s76, s52
	v_cndmask_b32_e32 v10, v10, v12, vcc
	s_addc_u32 s57, s77, s53
.LBB17_23:                              ;   Parent Loop BB17_4 Depth=1
                                        ; =>  This Inner Loop Header: Depth=2
	global_load_dwordx2 v[12:13], v38, s[56:57]
	global_load_dwordx2 v[30:31], v38, s[54:55]
	s_add_i32 s51, s51, -1
	v_mov_b32_e32 v41, s23
	v_mov_b32_e32 v50, s24
	s_waitcnt vmcnt(1)
	v_add_f64 v[12:13], v[12:13], -v[8:9]
	s_waitcnt vmcnt(0)
	v_div_scale_f64 v[42:43], s[12:13], v[10:11], v[10:11], v[30:31]
	v_rcp_f64_e32 v[46:47], v[42:43]
	v_div_scale_f64 v[44:45], vcc, v[30:31], v[10:11], v[30:31]
	v_fma_f64 v[48:49], -v[42:43], v[46:47], 1.0
	v_fmac_f64_e32 v[46:47], v[46:47], v[48:49]
	v_fma_f64 v[48:49], -v[42:43], v[46:47], 1.0
	v_fmac_f64_e32 v[46:47], v[46:47], v[48:49]
	v_mul_f64 v[48:49], v[44:45], v[46:47]
	v_fma_f64 v[42:43], -v[42:43], v[48:49], v[44:45]
	v_div_fmas_f64 v[42:43], v[42:43], v[46:47], v[48:49]
	v_div_fixup_f64 v[10:11], v[42:43], v[10:11], v[30:31]
	v_add_f64 v[10:11], v[12:13], -v[10:11]
	v_cmp_gt_f64_e64 s[58:59], v[10:11], -s[24:25]
	v_cmp_ge_f64_e32 vcc, s[24:25], v[10:11]
	s_nop 1
	v_addc_co_u32_e64 v5, s[12:13], 0, v5, vcc
	s_and_b64 vcc, vcc, s[58:59]
	s_add_u32 s56, s56, 8
	s_addc_u32 s57, s57, 0
	s_add_u32 s54, s54, 8
	s_addc_u32 s55, s55, 0
	v_cndmask_b32_e32 v11, v11, v41, vcc
	s_cmp_lg_u32 s51, 0
	v_cndmask_b32_e32 v10, v10, v50, vcc
	s_cbranch_scc1 .LBB17_23
.LBB17_24:                              ;   in Loop: Header=BB17_4 Depth=1
	v_sub_u32_e32 v10, v5, v4
	v_cmp_gt_i32_e32 vcc, 1, v10
	s_mov_b64 s[12:13], -1
	s_cbranch_vccz .LBB17_26
; %bb.25:                               ;   in Loop: Header=BB17_4 Depth=1
	s_add_u32 s12, s74, s26
	s_addc_u32 s13, s75, s27
	ds_write_b8 v38, v38 offset:6660
	global_store_dword v38, v38, s[12:13]
	s_mov_b64 s[12:13], 0
.LBB17_26:                              ;   in Loop: Header=BB17_4 Depth=1
	s_andn2_b64 vcc, exec, s[12:13]
	s_cbranch_vccnz .LBB17_28
; %bb.27:                               ;   in Loop: Header=BB17_4 Depth=1
	s_add_i32 s12, s22, s29
	s_lshl_b32 s12, s12, 1
	s_ashr_i32 s13, s12, 31
	s_lshl_b64 s[54:55], s[12:13], 3
	s_add_u32 s54, s30, s54
	s_addc_u32 s55, s31, s55
	global_store_dwordx4 v38, v[6:9], s[54:55]
	s_add_u32 s54, s74, s26
	s_addc_u32 s55, s75, s27
	s_lshl_b64 s[12:13], s[12:13], 2
	s_add_u32 s12, s34, s12
	s_addc_u32 s13, s35, s13
	ds_write_b8 v38, v39 offset:6660
	global_store_dword v38, v10, s[54:55]
	global_store_dwordx2 v38, v[4:5], s[12:13]
.LBB17_28:                              ;   in Loop: Header=BB17_4 Depth=1
	s_or_b64 exec, exec, s[14:15]
	s_add_i32 s3, s3, 2
	s_mov_b32 s23, 0
	s_mov_b32 s84, 1
.LBB17_29:                              ;   in Loop: Header=BB17_4 Depth=1
	s_waitcnt lgkmcnt(0)
	s_barrier
	ds_read_u16 v4, v38 offset:6660
	s_waitcnt lgkmcnt(0)
	v_readfirstlane_b32 s12, v4
	s_bitcmp1_b32 s12, 0
	s_cselect_b64 s[14:15], -1, 0
	s_bitcmp1_b32 s12, 8
	s_cselect_b64 s[12:13], -1, 0
	s_xor_b64 s[54:55], s[12:13], -1
	s_and_b64 s[54:55], s[14:15], s[54:55]
	s_cmp_lt_i32 s23, s3
	s_cselect_b64 s[56:57], -1, 0
	s_and_b64 s[54:55], s[54:55], s[56:57]
	s_andn2_b64 vcc, exec, s[54:55]
	s_cbranch_vccnz .LBB17_70
; %bb.30:                               ;   in Loop: Header=BB17_4 Depth=1
	s_add_i32 s12, s22, s29
	s_lshl_b32 s86, s22, 1
	s_lshl_b32 s87, s12, 1
	s_add_u32 s54, s72, s52
	v_mov_b32_e32 v4, s21
	s_addc_u32 s55, s73, s53
	v_cndmask_b32_e64 v3, v4, v3, s[0:1]
	v_mov_b32_e32 v4, s20
	s_cmp_gt_i32 s50, 1
	v_cndmask_b32_e64 v2, v4, v2, s[0:1]
	s_cselect_b64 s[50:51], -1, 0
	s_not_b32 s88, s22
	v_mov_b32_e32 v4, s25
	v_cmp_gt_f64_e32 vcc, s[24:25], v[2:3]
	s_add_i32 s88, s88, s85
	s_add_u32 s52, s76, s52
	v_cndmask_b32_e32 v31, v3, v4, vcc
	v_mov_b32_e32 v3, s24
	v_cndmask_b32_e32 v30, v2, v3, vcc
	s_addc_u32 s53, s77, s53
	s_branch .LBB17_32
.LBB17_31:                              ;   in Loop: Header=BB17_32 Depth=2
	s_or_b64 exec, exec, s[12:13]
	s_waitcnt lgkmcnt(0)
	s_barrier
	ds_read_u16 v2, v38 offset:6660
	s_add_i32 s23, s23, 1
	s_waitcnt lgkmcnt(0)
	v_readfirstlane_b32 s12, v2
	s_bitcmp1_b32 s12, 0
	s_cselect_b64 s[14:15], -1, 0
	s_bitcmp1_b32 s12, 8
	s_cselect_b64 s[12:13], -1, 0
	s_xor_b64 s[56:57], s[12:13], -1
	s_and_b64 s[56:57], s[14:15], s[56:57]
	s_cmp_lt_i32 s23, s3
	s_cselect_b64 s[58:59], -1, 0
	s_and_b64 s[56:57], s[56:57], s[58:59]
	s_and_b64 vcc, exec, s[56:57]
	s_cbranch_vccz .LBB17_71
.LBB17_32:                              ;   Parent Loop BB17_4 Depth=1
                                        ; =>  This Loop Header: Depth=2
                                        ;       Child Loop BB17_37 Depth 3
                                        ;         Child Loop BB17_40 Depth 4
                                        ;         Child Loop BB17_54 Depth 4
	;; [unrolled: 1-line block ×3, first 2 shown]
	s_and_saveexec_b64 s[12:13], s[4:5]
; %bb.33:                               ;   in Loop: Header=BB17_32 Depth=2
	ds_write_b32 v38, v38 offset:6656
; %bb.34:                               ;   in Loop: Header=BB17_32 Depth=2
	s_or_b64 exec, exec, s[12:13]
	s_bitcmp0_b32 s23, 0
	s_cselect_b64 s[12:13], -1, 0
	s_and_b64 s[14:15], s[12:13], exec
	s_cselect_b32 s85, s86, s87
	s_cmp_lt_i32 s84, 1
	s_cbranch_scc1 .LBB17_66
; %bb.35:                               ;   in Loop: Header=BB17_32 Depth=2
	s_and_b64 s[12:13], s[12:13], exec
	s_cselect_b32 s89, s87, s86
	s_mov_b32 s90, 0
	s_branch .LBB17_37
.LBB17_36:                              ;   in Loop: Header=BB17_37 Depth=3
	s_or_b64 exec, exec, s[12:13]
	s_addk_i32 s90, 0x80
	s_cmp_ge_i32 s90, s84
	s_waitcnt lgkmcnt(0)
	s_barrier
	s_cbranch_scc1 .LBB17_66
.LBB17_37:                              ;   Parent Loop BB17_4 Depth=1
                                        ;     Parent Loop BB17_32 Depth=2
                                        ; =>    This Loop Header: Depth=3
                                        ;         Child Loop BB17_40 Depth 4
                                        ;         Child Loop BB17_54 Depth 4
	;; [unrolled: 1-line block ×3, first 2 shown]
	v_add_u32_e32 v2, s90, v0
	v_cmp_gt_i32_e64 s[12:13], s84, v2
	s_and_saveexec_b64 s[56:57], s[12:13]
	s_cbranch_execz .LBB17_50
; %bb.38:                               ;   in Loop: Header=BB17_37 Depth=3
	v_lshl_add_u32 v4, v2, 1, s89
	v_ashrrev_i32_e32 v5, 31, v4
	v_lshl_add_u64 v[2:3], v[4:5], 3, s[30:31]
	global_load_dwordx4 v[6:9], v[2:3], off
	s_nop 0
	global_load_dwordx2 v[2:3], v38, s[48:49]
	v_lshl_add_u64 v[4:5], v[4:5], 2, s[34:35]
	global_load_dwordx2 v[4:5], v[4:5], off
	s_andn2_b64 vcc, exec, s[50:51]
	s_waitcnt vmcnt(2)
	v_add_f64 v[12:13], v[6:7], v[8:9]
	s_waitcnt vmcnt(1)
	v_fmac_f64_e32 v[2:3], -0.5, v[12:13]
	v_cmp_ge_f64_e64 s[14:15], s[24:25], v[2:3]
	v_mul_f64 v[10:11], v[12:13], 0.5
	s_nop 0
	v_cndmask_b32_e64 v12, 0, 1, s[14:15]
	s_cbranch_vccnz .LBB17_41
; %bb.39:                               ;   in Loop: Header=BB17_37 Depth=3
	s_xor_b32 s91, s25, 0x80000000
	v_cmp_gt_f64_e64 s[58:59], v[2:3], -s[24:25]
	v_mov_b32_e32 v13, s91
	s_and_b64 vcc, s[14:15], s[58:59]
	v_cndmask_b32_e32 v3, v3, v13, vcc
	v_mov_b32_e32 v13, s24
	v_cndmask_b32_e32 v2, v2, v13, vcc
	s_mov_b64 s[58:59], s[54:55]
	s_mov_b64 s[60:61], s[52:53]
	s_mov_b32 s92, s88
.LBB17_40:                              ;   Parent Loop BB17_4 Depth=1
                                        ;     Parent Loop BB17_32 Depth=2
                                        ;       Parent Loop BB17_37 Depth=3
                                        ; =>      This Inner Loop Header: Depth=4
	global_load_dwordx2 v[42:43], v38, s[60:61]
	global_load_dwordx2 v[44:45], v38, s[58:59]
	s_add_i32 s92, s92, -1
	v_mov_b32_e32 v13, s91
	v_mov_b32_e32 v41, s24
	s_waitcnt vmcnt(1)
	v_add_f64 v[42:43], v[42:43], -v[10:11]
	s_waitcnt vmcnt(0)
	v_div_scale_f64 v[46:47], s[14:15], v[2:3], v[2:3], v[44:45]
	v_rcp_f64_e32 v[50:51], v[46:47]
	v_div_scale_f64 v[48:49], vcc, v[44:45], v[2:3], v[44:45]
	v_fma_f64 v[52:53], -v[46:47], v[50:51], 1.0
	v_fmac_f64_e32 v[50:51], v[50:51], v[52:53]
	v_fma_f64 v[52:53], -v[46:47], v[50:51], 1.0
	v_fmac_f64_e32 v[50:51], v[50:51], v[52:53]
	v_mul_f64 v[52:53], v[48:49], v[50:51]
	v_fma_f64 v[46:47], -v[46:47], v[52:53], v[48:49]
	v_div_fmas_f64 v[46:47], v[46:47], v[50:51], v[52:53]
	v_div_fixup_f64 v[2:3], v[46:47], v[2:3], v[44:45]
	v_add_f64 v[2:3], v[42:43], -v[2:3]
	v_cmp_gt_f64_e64 s[94:95], v[2:3], -s[24:25]
	v_cmp_ge_f64_e32 vcc, s[24:25], v[2:3]
	s_nop 1
	v_addc_co_u32_e64 v12, s[14:15], 0, v12, vcc
	s_and_b64 vcc, vcc, s[94:95]
	s_add_u32 s60, s60, 8
	s_addc_u32 s61, s61, 0
	s_add_u32 s58, s58, 8
	s_addc_u32 s59, s59, 0
	v_cndmask_b32_e32 v3, v3, v13, vcc
	s_cmp_lg_u32 s92, 0
	v_cndmask_b32_e32 v2, v2, v41, vcc
	s_cbranch_scc1 .LBB17_40
.LBB17_41:                              ;   in Loop: Header=BB17_37 Depth=3
	s_waitcnt vmcnt(0)
	v_max_i32_e32 v2, v12, v4
	v_min_i32_e32 v3, v2, v5
	v_cmp_ne_u32_e32 vcc, v3, v4
	s_and_saveexec_b64 s[14:15], vcc
	s_xor_b64 s[14:15], exec, s[14:15]
	s_cbranch_execz .LBB17_47
; %bb.42:                               ;   in Loop: Header=BB17_37 Depth=3
	v_cmp_le_i32_e32 vcc, v5, v2
	s_and_saveexec_b64 s[58:59], vcc
	s_xor_b64 s[58:59], exec, s[58:59]
	s_cbranch_execz .LBB17_44
; %bb.43:                               ;   in Loop: Header=BB17_37 Depth=3
	v_mov_b32_e32 v8, v10
	v_mov_b32_e32 v9, v11
	;; [unrolled: 1-line block ×3, first 2 shown]
	ds_write_b32 v34, v38
	ds_write_b128 v35, v[6:9]
	ds_write_b64 v36, v[2:3]
                                        ; implicit-def: $vgpr6_vgpr7
                                        ; implicit-def: $vgpr10_vgpr11
.LBB17_44:                              ;   in Loop: Header=BB17_37 Depth=3
	s_andn2_saveexec_b64 s[58:59], s[58:59]
	s_cbranch_execz .LBB17_46
; %bb.45:                               ;   in Loop: Header=BB17_37 Depth=3
	v_mov_b32_e32 v42, v6
	v_mov_b32_e32 v43, v7
	;; [unrolled: 1-line block ×8, first 2 shown]
	ds_write_b32 v34, v39
	ds_write_b128 v35, v[42:45]
	ds_write_b128 v35, v[10:13] offset:16
	ds_write_b128 v36, v[2:5]
.LBB17_46:                              ;   in Loop: Header=BB17_37 Depth=3
	s_or_b64 exec, exec, s[58:59]
                                        ; implicit-def: $vgpr10_vgpr11
                                        ; implicit-def: $vgpr8_vgpr9
.LBB17_47:                              ;   in Loop: Header=BB17_37 Depth=3
	s_andn2_saveexec_b64 s[14:15], s[14:15]
	s_cbranch_execz .LBB17_49
; %bb.48:                               ;   in Loop: Header=BB17_37 Depth=3
	v_mov_b32_e32 v12, v8
	v_mov_b32_e32 v13, v9
	ds_write_b32 v34, v38
	ds_write_b128 v35, v[10:13]
	ds_write_b64 v36, v[4:5]
.LBB17_49:                              ;   in Loop: Header=BB17_37 Depth=3
	s_or_b64 exec, exec, s[14:15]
.LBB17_50:                              ;   in Loop: Header=BB17_37 Depth=3
	s_or_b64 exec, exec, s[56:57]
	s_waitcnt lgkmcnt(0)
	s_barrier
	s_and_saveexec_b64 s[14:15], s[12:13]
	s_cbranch_execz .LBB17_64
; %bb.51:                               ;   in Loop: Header=BB17_37 Depth=3
	v_mov_b32_e32 v5, 0
	s_and_saveexec_b64 s[12:13], s[6:7]
	s_cbranch_execz .LBB17_61
; %bb.52:                               ;   in Loop: Header=BB17_37 Depth=3
	s_mov_b64 s[58:59], -1
	v_mov_b32_e32 v5, 0
	v_mov_b32_e32 v3, 0
	s_and_saveexec_b64 s[56:57], s[8:9]
	s_cbranch_execz .LBB17_56
; %bb.53:                               ;   in Loop: Header=BB17_37 Depth=3
	s_movk_i32 s60, 0x1800
	s_mov_b64 s[58:59], 0
	v_mov_b32_e32 v3, 0
	v_mov_b32_e32 v2, 0
	v_mov_b32_e32 v5, 0
	v_mov_b32_e32 v4, 0
	v_mov_b32_e32 v6, v37
.LBB17_54:                              ;   Parent Loop BB17_4 Depth=1
                                        ;     Parent Loop BB17_32 Depth=2
                                        ;       Parent Loop BB17_37 Depth=3
                                        ; =>      This Inner Loop Header: Depth=4
	v_mov_b32_e32 v7, s60
	ds_read_b128 v[8:11], v7
	v_add_u32_e32 v6, -4, v6
	s_add_i32 s60, s60, 16
	v_cmp_eq_u32_e32 vcc, 0, v6
	s_or_b64 s[58:59], vcc, s[58:59]
	s_waitcnt lgkmcnt(0)
	v_add_u32_e32 v3, v9, v3
	v_add_u32_e32 v2, v8, v2
	;; [unrolled: 1-line block ×4, first 2 shown]
	s_andn2_b64 exec, exec, s[58:59]
	s_cbranch_execnz .LBB17_54
; %bb.55:                               ;   in Loop: Header=BB17_37 Depth=3
	s_or_b64 exec, exec, s[58:59]
	v_add_u32_e32 v3, v5, v3
	v_add3_u32 v5, v4, v2, v3
	s_orn2_b64 s[58:59], s[10:11], exec
	v_mov_b32_e32 v3, v37
.LBB17_56:                              ;   in Loop: Header=BB17_37 Depth=3
	s_or_b64 exec, exec, s[56:57]
	s_and_saveexec_b64 s[56:57], s[58:59]
	s_cbranch_execz .LBB17_60
; %bb.57:                               ;   in Loop: Header=BB17_37 Depth=3
	v_sub_u32_e32 v2, v0, v3
	v_lshl_or_b32 v3, v3, 2, v33
	s_mov_b64 s[58:59], 0
.LBB17_58:                              ;   Parent Loop BB17_4 Depth=1
                                        ;     Parent Loop BB17_32 Depth=2
                                        ;       Parent Loop BB17_37 Depth=3
                                        ; =>      This Inner Loop Header: Depth=4
	ds_read_b32 v4, v3
	v_add_u32_e32 v2, -1, v2
	v_cmp_eq_u32_e32 vcc, 0, v2
	v_add_u32_e32 v3, 4, v3
	s_or_b64 s[58:59], vcc, s[58:59]
	s_waitcnt lgkmcnt(0)
	v_add_u32_e32 v5, v4, v5
	s_andn2_b64 exec, exec, s[58:59]
	s_cbranch_execnz .LBB17_58
; %bb.59:                               ;   in Loop: Header=BB17_37 Depth=3
	s_or_b64 exec, exec, s[58:59]
.LBB17_60:                              ;   in Loop: Header=BB17_37 Depth=3
	s_or_b64 exec, exec, s[56:57]
.LBB17_61:                              ;   in Loop: Header=BB17_37 Depth=3
	s_or_b64 exec, exec, s[12:13]
	ds_read_b32 v2, v38 offset:6656
	ds_read_b64 v[12:13], v36
	ds_read_b128 v[8:11], v35
	ds_read_b32 v4, v34
	s_waitcnt lgkmcnt(3)
	v_add3_u32 v2, v5, v0, v2
	v_lshl_add_u32 v6, v2, 1, s85
	v_ashrrev_i32_e32 v7, 31, v6
	v_lshl_add_u64 v[2:3], v[6:7], 3, s[30:31]
	v_lshl_add_u64 v[6:7], v[6:7], 2, s[34:35]
	s_waitcnt lgkmcnt(0)
	v_cmp_ne_u32_e32 vcc, 0, v4
	global_store_dwordx4 v[2:3], v[8:11], off
	global_store_dwordx2 v[6:7], v[12:13], off
	s_and_saveexec_b64 s[12:13], vcc
	s_cbranch_execz .LBB17_63
; %bb.62:                               ;   in Loop: Header=BB17_37 Depth=3
	ds_read_b128 v[8:11], v35 offset:16
	ds_read_b64 v[12:13], v36 offset:8
	s_waitcnt lgkmcnt(1)
	global_store_dwordx4 v[2:3], v[8:11], off offset:16
	s_waitcnt lgkmcnt(0)
	global_store_dwordx2 v[6:7], v[12:13], off offset:8
.LBB17_63:                              ;   in Loop: Header=BB17_37 Depth=3
	s_or_b64 exec, exec, s[12:13]
.LBB17_64:                              ;   in Loop: Header=BB17_37 Depth=3
	s_or_b64 exec, exec, s[14:15]
	s_sub_i32 s12, s84, s90
	s_min_i32 s14, s12, 0x80
	s_add_i32 s12, s14, -1
	v_cmp_eq_u32_e32 vcc, s12, v0
	s_barrier
	s_and_saveexec_b64 s[12:13], vcc
	s_cbranch_execz .LBB17_36
; %bb.65:                               ;   in Loop: Header=BB17_37 Depth=3
	ds_read_b32 v2, v34
	ds_read_b32 v3, v38 offset:6656
	v_add_u32_e32 v4, s14, v5
	s_waitcnt lgkmcnt(0)
	v_add3_u32 v2, v4, v2, v3
	ds_write_b32 v38, v2 offset:6656
	s_branch .LBB17_36
.LBB17_66:                              ;   in Loop: Header=BB17_32 Depth=2
	ds_read_b32 v2, v38 offset:6656
	s_waitcnt lgkmcnt(0)
	v_readfirstlane_b32 s84, v2
	s_and_saveexec_b64 s[12:13], s[4:5]
	s_cbranch_execz .LBB17_31
; %bb.67:                               ;   in Loop: Header=BB17_32 Depth=2
	ds_read_b128 v[6:9], v38
	s_waitcnt lgkmcnt(0)
	v_cmp_lt_f64_e64 vcc, |v[6:7]|, |v[8:9]|
	v_add_f64 v[2:3], v[8:9], -v[6:7]
	s_nop 0
	v_cndmask_b32_e32 v7, v7, v9, vcc
	v_cndmask_b32_e32 v6, v6, v8, vcc
	v_mul_f64 v[6:7], v[28:29], |v[6:7]|
	v_cmp_lt_f64_e32 vcc, v[30:31], v[6:7]
	s_nop 1
	v_cndmask_b32_e32 v7, v31, v7, vcc
	v_cndmask_b32_e32 v6, v30, v6, vcc
	v_cmp_nlt_f64_e32 vcc, v[2:3], v[6:7]
	s_cbranch_vccnz .LBB17_31
; %bb.68:                               ;   in Loop: Header=BB17_32 Depth=2
	ds_write_b8 v38, v39 offset:6661
	s_branch .LBB17_31
.LBB17_69:                              ;   in Loop: Header=BB17_4 Depth=1
                                        ; implicit-def: $sgpr23
                                        ; implicit-def: $sgpr85
                                        ; implicit-def: $sgpr3
                                        ; implicit-def: $sgpr84
                                        ; implicit-def: $vgpr5
	s_cbranch_execz .LBB17_3
	s_branch .LBB17_83
.LBB17_70:                              ;   in Loop: Header=BB17_4 Depth=1
	s_mov_b32 s85, s81
.LBB17_71:                              ;   in Loop: Header=BB17_4 Depth=1
	s_and_b64 s[48:49], s[4:5], s[14:15]
	s_and_saveexec_b64 s[14:15], s[48:49]
	s_cbranch_execz .LBB17_82
; %bb.72:                               ;   in Loop: Header=BB17_4 Depth=1
	s_cmp_lt_i32 s84, 1
	s_cbranch_scc1 .LBB17_80
; %bb.73:                               ;   in Loop: Header=BB17_4 Depth=1
	s_add_i32 s50, s2, 1
	s_not_b32 s51, s2
	s_and_b64 s[48:49], s[12:13], exec
	s_cselect_b32 s48, s50, s51
	s_mov_b32 s52, 0
	v_mov_b32_e32 v4, s48
	s_mov_b32 s53, 0
	s_branch .LBB17_75
.LBB17_74:                              ;   in Loop: Header=BB17_75 Depth=2
	s_add_i32 s52, s52, 1
	s_cmp_eq_u32 s52, s84
	s_cbranch_scc1 .LBB17_79
.LBB17_75:                              ;   Parent Loop BB17_4 Depth=1
                                        ; =>  This Loop Header: Depth=2
                                        ;       Child Loop BB17_77 Depth 3
	s_lshl_b32 s48, s52, 1
	s_add_i32 s48, s48, s85
	s_ashr_i32 s49, s48, 31
	s_lshl_b64 s[50:51], s[48:49], 2
	s_add_u32 s50, s34, s50
	s_addc_u32 s51, s35, s51
	global_load_dwordx2 v[2:3], v38, s[50:51]
	s_waitcnt vmcnt(0)
	v_readfirstlane_b32 s50, v2
	v_readfirstlane_b32 s54, v3
	s_sub_i32 s55, s54, s50
	s_cmp_lt_i32 s55, 1
	s_cbranch_scc1 .LBB17_74
; %bb.76:                               ;   in Loop: Header=BB17_75 Depth=2
	s_lshl_b64 s[48:49], s[48:49], 3
	s_add_u32 s48, s30, s48
	s_addc_u32 s49, s31, s49
	global_load_dwordx4 v[6:9], v38, s[48:49]
	s_add_i32 s50, s22, s53
	s_ashr_i32 s51, s50, 31
	s_lshl_b64 s[48:49], s[50:51], 3
	s_add_u32 s48, s66, s48
	s_addc_u32 s49, s67, s49
	s_lshl_b64 s[50:51], s[50:51], 2
	s_add_u32 s50, s68, s50
	s_addc_u32 s51, s69, s51
	s_mov_b32 s56, 0
	s_waitcnt vmcnt(0)
	v_add_f64 v[2:3], v[6:7], v[8:9]
	v_mul_f64 v[2:3], v[2:3], 0.5
.LBB17_77:                              ;   Parent Loop BB17_4 Depth=1
                                        ;     Parent Loop BB17_75 Depth=2
                                        ; =>    This Inner Loop Header: Depth=3
	s_add_i32 s56, s56, 1
	global_store_dwordx2 v38, v[2:3], s[48:49]
	global_store_dword v38, v4, s[50:51]
	s_add_u32 s48, s48, 8
	s_addc_u32 s49, s49, 0
	s_add_u32 s50, s50, 4
	s_addc_u32 s51, s51, 0
	s_cmp_ge_i32 s56, s55
	s_cbranch_scc0 .LBB17_77
; %bb.78:                               ;   in Loop: Header=BB17_75 Depth=2
	s_add_i32 s53, s53, s56
	s_branch .LBB17_74
.LBB17_79:                              ;   in Loop: Header=BB17_4 Depth=1
	v_mov_b32_e32 v5, s54
.LBB17_80:                              ;   in Loop: Header=BB17_4 Depth=1
	s_xor_b64 s[12:13], s[12:13], -1
	s_and_b64 vcc, exec, s[12:13]
	s_cbranch_vccz .LBB17_82
; %bb.81:                               ;   in Loop: Header=BB17_4 Depth=1
	global_store_dword v38, v39, s[18:19]
.LBB17_82:                              ;   in Loop: Header=BB17_4 Depth=1
	s_or_b64 exec, exec, s[14:15]
	s_branch .LBB17_3
.LBB17_83:                              ;   in Loop: Header=BB17_4 Depth=1
	s_and_saveexec_b64 s[12:13], s[4:5]
	s_cbranch_execz .LBB17_2
; %bb.84:                               ;   in Loop: Header=BB17_4 Depth=1
	s_ashr_i32 s23, s22, 31
	s_lshl_b64 s[14:15], s[22:23], 3
	s_add_u32 s48, s62, s14
	s_addc_u32 s49, s63, s15
	global_load_dwordx2 v[2:3], v38, s[48:49]
	s_andn2_b64 vcc, exec, s[36:37]
	s_mov_b64 s[48:49], -1
	s_cbranch_vccnz .LBB17_89
; %bb.85:                               ;   in Loop: Header=BB17_4 Depth=1
	global_load_dwordx2 v[6:7], v38, s[16:17]
	s_waitcnt vmcnt(1)
	v_add_f64 v[4:5], v[2:3], -s[24:25]
	s_mov_b64 s[48:49], 0
	s_waitcnt vmcnt(0)
	v_cmp_lt_f64_e32 vcc, v[6:7], v[4:5]
	v_cmp_nlt_f64_e64 s[50:51], v[6:7], v[4:5]
	s_cbranch_vccz .LBB17_87
; %bb.86:                               ;   in Loop: Header=BB17_4 Depth=1
	global_load_dwordx2 v[6:7], v38, s[16:17] offset:8
	s_mov_b64 s[48:49], -1
	s_waitcnt vmcnt(0)
	v_cmp_nge_f64_e64 s[50:51], v[6:7], v[4:5]
.LBB17_87:                              ;   in Loop: Header=BB17_4 Depth=1
	s_andn2_b64 vcc, exec, s[50:51]
	s_cbranch_vccnz .LBB17_89
; %bb.88:                               ;   in Loop: Header=BB17_4 Depth=1
	s_add_u32 s48, s74, s26
	s_addc_u32 s49, s75, s27
	global_store_dword v38, v38, s[48:49]
	s_mov_b64 s[48:49], 0
.LBB17_89:                              ;   in Loop: Header=BB17_4 Depth=1
	s_and_b64 vcc, exec, s[48:49]
	s_cbranch_vccz .LBB17_2
; %bb.90:                               ;   in Loop: Header=BB17_4 Depth=1
	s_add_u32 s14, s66, s14
	s_addc_u32 s15, s67, s15
	s_waitcnt vmcnt(0)
	global_store_dwordx2 v38, v[2:3], s[14:15]
	s_add_u32 s14, s74, s26
	s_addc_u32 s15, s75, s27
	global_store_dword v38, v39, s[14:15]
	s_add_i32 s3, s2, 1
	s_lshl_b64 s[14:15], s[22:23], 2
	s_add_u32 s14, s68, s14
	s_addc_u32 s15, s69, s15
	v_mov_b32_e32 v2, s3
	global_store_dword v38, v2, s[14:15]
	s_branch .LBB17_2
.LBB17_91:
	s_endpgm
	.section	.rodata,"a",@progbits
	.p2align	6, 0x0
	.amdhsa_kernel _ZN9rocsolver6v33100L22stebz_bisection_kernelIdPdEEv15rocblas_erange_iT_T0_iiS5_iiPiPS4_lS6_lS6_lS6_S6_S7_S7_S7_S7_S6_S4_S4_
		.amdhsa_group_segment_fixed_size 6664
		.amdhsa_private_segment_fixed_size 0
		.amdhsa_kernarg_size 176
		.amdhsa_user_sgpr_count 2
		.amdhsa_user_sgpr_dispatch_ptr 0
		.amdhsa_user_sgpr_queue_ptr 0
		.amdhsa_user_sgpr_kernarg_segment_ptr 1
		.amdhsa_user_sgpr_dispatch_id 0
		.amdhsa_user_sgpr_kernarg_preload_length 0
		.amdhsa_user_sgpr_kernarg_preload_offset 0
		.amdhsa_user_sgpr_private_segment_size 0
		.amdhsa_uses_dynamic_stack 0
		.amdhsa_enable_private_segment 0
		.amdhsa_system_sgpr_workgroup_id_x 1
		.amdhsa_system_sgpr_workgroup_id_y 1
		.amdhsa_system_sgpr_workgroup_id_z 0
		.amdhsa_system_sgpr_workgroup_info 0
		.amdhsa_system_vgpr_workitem_id 0
		.amdhsa_next_free_vgpr 54
		.amdhsa_next_free_sgpr 96
		.amdhsa_accum_offset 56
		.amdhsa_reserve_vcc 1
		.amdhsa_float_round_mode_32 0
		.amdhsa_float_round_mode_16_64 0
		.amdhsa_float_denorm_mode_32 3
		.amdhsa_float_denorm_mode_16_64 3
		.amdhsa_dx10_clamp 1
		.amdhsa_ieee_mode 1
		.amdhsa_fp16_overflow 0
		.amdhsa_tg_split 0
		.amdhsa_exception_fp_ieee_invalid_op 0
		.amdhsa_exception_fp_denorm_src 0
		.amdhsa_exception_fp_ieee_div_zero 0
		.amdhsa_exception_fp_ieee_overflow 0
		.amdhsa_exception_fp_ieee_underflow 0
		.amdhsa_exception_fp_ieee_inexact 0
		.amdhsa_exception_int_div_zero 0
	.end_amdhsa_kernel
	.section	.text._ZN9rocsolver6v33100L22stebz_bisection_kernelIdPdEEv15rocblas_erange_iT_T0_iiS5_iiPiPS4_lS6_lS6_lS6_S6_S7_S7_S7_S7_S6_S4_S4_,"axG",@progbits,_ZN9rocsolver6v33100L22stebz_bisection_kernelIdPdEEv15rocblas_erange_iT_T0_iiS5_iiPiPS4_lS6_lS6_lS6_S6_S7_S7_S7_S7_S6_S4_S4_,comdat
.Lfunc_end17:
	.size	_ZN9rocsolver6v33100L22stebz_bisection_kernelIdPdEEv15rocblas_erange_iT_T0_iiS5_iiPiPS4_lS6_lS6_lS6_S6_S7_S7_S7_S7_S6_S4_S4_, .Lfunc_end17-_ZN9rocsolver6v33100L22stebz_bisection_kernelIdPdEEv15rocblas_erange_iT_T0_iiS5_iiPiPS4_lS6_lS6_lS6_S6_S7_S7_S7_S7_S6_S4_S4_
                                        ; -- End function
	.set _ZN9rocsolver6v33100L22stebz_bisection_kernelIdPdEEv15rocblas_erange_iT_T0_iiS5_iiPiPS4_lS6_lS6_lS6_S6_S7_S7_S7_S7_S6_S4_S4_.num_vgpr, 54
	.set _ZN9rocsolver6v33100L22stebz_bisection_kernelIdPdEEv15rocblas_erange_iT_T0_iiS5_iiPiPS4_lS6_lS6_lS6_S6_S7_S7_S7_S7_S6_S4_S4_.num_agpr, 0
	.set _ZN9rocsolver6v33100L22stebz_bisection_kernelIdPdEEv15rocblas_erange_iT_T0_iiS5_iiPiPS4_lS6_lS6_lS6_S6_S7_S7_S7_S7_S6_S4_S4_.numbered_sgpr, 96
	.set _ZN9rocsolver6v33100L22stebz_bisection_kernelIdPdEEv15rocblas_erange_iT_T0_iiS5_iiPiPS4_lS6_lS6_lS6_S6_S7_S7_S7_S7_S6_S4_S4_.num_named_barrier, 0
	.set _ZN9rocsolver6v33100L22stebz_bisection_kernelIdPdEEv15rocblas_erange_iT_T0_iiS5_iiPiPS4_lS6_lS6_lS6_S6_S7_S7_S7_S7_S6_S4_S4_.private_seg_size, 0
	.set _ZN9rocsolver6v33100L22stebz_bisection_kernelIdPdEEv15rocblas_erange_iT_T0_iiS5_iiPiPS4_lS6_lS6_lS6_S6_S7_S7_S7_S7_S6_S4_S4_.uses_vcc, 1
	.set _ZN9rocsolver6v33100L22stebz_bisection_kernelIdPdEEv15rocblas_erange_iT_T0_iiS5_iiPiPS4_lS6_lS6_lS6_S6_S7_S7_S7_S7_S6_S4_S4_.uses_flat_scratch, 0
	.set _ZN9rocsolver6v33100L22stebz_bisection_kernelIdPdEEv15rocblas_erange_iT_T0_iiS5_iiPiPS4_lS6_lS6_lS6_S6_S7_S7_S7_S7_S6_S4_S4_.has_dyn_sized_stack, 0
	.set _ZN9rocsolver6v33100L22stebz_bisection_kernelIdPdEEv15rocblas_erange_iT_T0_iiS5_iiPiPS4_lS6_lS6_lS6_S6_S7_S7_S7_S7_S6_S4_S4_.has_recursion, 0
	.set _ZN9rocsolver6v33100L22stebz_bisection_kernelIdPdEEv15rocblas_erange_iT_T0_iiS5_iiPiPS4_lS6_lS6_lS6_S6_S7_S7_S7_S7_S6_S4_S4_.has_indirect_call, 0
	.section	.AMDGPU.csdata,"",@progbits
; Kernel info:
; codeLenInByte = 5480
; TotalNumSgprs: 102
; NumVgprs: 54
; NumAgprs: 0
; TotalNumVgprs: 54
; ScratchSize: 0
; MemoryBound: 0
; FloatMode: 240
; IeeeMode: 1
; LDSByteSize: 6664 bytes/workgroup (compile time only)
; SGPRBlocks: 12
; VGPRBlocks: 6
; NumSGPRsForWavesPerEU: 102
; NumVGPRsForWavesPerEU: 54
; AccumOffset: 56
; Occupancy: 7
; WaveLimiterHint : 1
; COMPUTE_PGM_RSRC2:SCRATCH_EN: 0
; COMPUTE_PGM_RSRC2:USER_SGPR: 2
; COMPUTE_PGM_RSRC2:TRAP_HANDLER: 0
; COMPUTE_PGM_RSRC2:TGID_X_EN: 1
; COMPUTE_PGM_RSRC2:TGID_Y_EN: 1
; COMPUTE_PGM_RSRC2:TGID_Z_EN: 0
; COMPUTE_PGM_RSRC2:TIDIG_COMP_CNT: 0
; COMPUTE_PGM_RSRC3_GFX90A:ACCUM_OFFSET: 13
; COMPUTE_PGM_RSRC3_GFX90A:TG_SPLIT: 0
	.section	.text._ZN9rocsolver6v33100L22stebz_synthesis_kernelIdPdEEv15rocblas_erange_15rocblas_eorder_iiiT0_iiPiS6_PT_lS6_lS6_liS6_S8_S8_S8_S8_S6_S7_,"axG",@progbits,_ZN9rocsolver6v33100L22stebz_synthesis_kernelIdPdEEv15rocblas_erange_15rocblas_eorder_iiiT0_iiPiS6_PT_lS6_lS6_liS6_S8_S8_S8_S8_S6_S7_,comdat
	.globl	_ZN9rocsolver6v33100L22stebz_synthesis_kernelIdPdEEv15rocblas_erange_15rocblas_eorder_iiiT0_iiPiS6_PT_lS6_lS6_liS6_S8_S8_S8_S8_S6_S7_ ; -- Begin function _ZN9rocsolver6v33100L22stebz_synthesis_kernelIdPdEEv15rocblas_erange_15rocblas_eorder_iiiT0_iiPiS6_PT_lS6_lS6_liS6_S8_S8_S8_S8_S6_S7_
	.p2align	8
	.type	_ZN9rocsolver6v33100L22stebz_synthesis_kernelIdPdEEv15rocblas_erange_15rocblas_eorder_iiiT0_iiPiS6_PT_lS6_lS6_liS6_S8_S8_S8_S8_S6_S7_,@function
_ZN9rocsolver6v33100L22stebz_synthesis_kernelIdPdEEv15rocblas_erange_15rocblas_eorder_iiiT0_iiPiS6_PT_lS6_lS6_liS6_S8_S8_S8_S8_S6_S7_: ; @_ZN9rocsolver6v33100L22stebz_synthesis_kernelIdPdEEv15rocblas_erange_15rocblas_eorder_iiiT0_iiPiS6_PT_lS6_lS6_liS6_S8_S8_S8_S8_S6_S7_
; %bb.0:
	s_load_dword s3, s[0:1], 0xb4
	s_load_dword s4, s[0:1], 0x68
	s_waitcnt lgkmcnt(0)
	s_and_b32 s3, s3, 0xffff
	s_mul_i32 s2, s2, s3
	v_add_u32_e32 v0, s2, v0
	v_cmp_gt_i32_e32 vcc, s4, v0
	s_and_saveexec_b64 s[2:3], vcc
	s_cbranch_execz .LBB18_61
; %bb.1:
	s_load_dwordx16 s[4:19], s[0:1], 0x28
	v_ashrrev_i32_e32 v1, 31, v0
	s_waitcnt lgkmcnt(0)
	v_mov_b32_e32 v2, s6
	v_mov_b32_e32 v3, s7
	v_lshl_add_u64 v[2:3], v[0:1], 2, v[2:3]
	global_load_dword v32, v[2:3], off
	s_load_dwordx8 s[20:27], s[0:1], 0x70
	s_load_dwordx4 s[28:31], s[0:1], 0x0
	s_load_dword s33, s[0:1], 0x10
	v_mul_lo_u32 v13, s11, v0
	v_mul_lo_u32 v14, s10, v1
	v_mad_u64_u32 v[2:3], s[2:3], s10, v0, 0
	v_mul_lo_u32 v17, s19, v0
	v_mul_lo_u32 v18, s18, v1
	v_mad_u64_u32 v[10:11], s[2:3], s18, v0, 0
	s_waitcnt lgkmcnt(0)
	v_mul_lo_u32 v12, v0, s30
	v_mov_b32_e32 v6, s16
	v_mov_b32_e32 v7, s17
	;; [unrolled: 1-line block ×4, first 2 shown]
	v_mul_lo_u32 v15, s15, v0
	v_mul_lo_u32 v16, s14, v1
	v_mad_u64_u32 v[4:5], s[2:3], s14, v0, 0
	v_add3_u32 v3, v3, v14, v13
	v_add3_u32 v11, v11, v18, v17
	v_ashrrev_i32_e32 v13, 31, v12
	s_cmpk_eq_i32 s28, 0xe9
	v_add3_u32 v5, v5, v16, v15
	v_lshl_add_u64 v[20:21], v[10:11], 2, v[6:7]
	v_lshl_add_u64 v[16:17], v[12:13], 2, v[8:9]
	s_waitcnt vmcnt(0)
	v_cmp_lt_i32_e32 vcc, 0, v32
	v_cmp_gt_i32_e64 s[2:3], 1, v32
	s_cbranch_scc1 .LBB18_12
; %bb.2:
	v_mov_b32_e32 v14, 0
	s_and_saveexec_b64 s[6:7], vcc
	s_cbranch_execz .LBB18_14
; %bb.3:
	s_mov_b32 s15, 0
	v_lshl_add_u64 v[6:7], v[2:3], 3, s[8:9]
	v_lshl_add_u64 v[8:9], v[4:5], 2, s[12:13]
	s_mov_b64 s[10:11], 0
	v_mov_b32_e32 v14, 0
	s_mov_b32 s14, s15
	s_branch .LBB18_5
.LBB18_4:                               ;   in Loop: Header=BB18_5 Depth=1
	s_or_b64 exec, exec, s[16:17]
	s_add_i32 s14, s14, 1
	v_cmp_eq_u32_e32 vcc, s14, v32
	s_or_b64 s[10:11], vcc, s[10:11]
	s_andn2_b64 exec, exec, s[10:11]
	s_cbranch_execz .LBB18_13
.LBB18_5:                               ; =>This Loop Header: Depth=1
                                        ;     Child Loop BB18_10 Depth 2
	s_cmp_eq_u32 s14, 0
	s_cbranch_scc1 .LBB18_7
; %bb.6:                                ;   in Loop: Header=BB18_5 Depth=1
	v_lshl_add_u64 v[10:11], s[14:15], 2, v[20:21]
	global_load_dword v18, v[10:11], off offset:-4
	s_mov_b64 s[16:17], s[14:15]
	s_branch .LBB18_8
.LBB18_7:                               ;   in Loop: Header=BB18_5 Depth=1
	v_mov_b32_e32 v18, 0
	s_mov_b64 s[16:17], 0
.LBB18_8:                               ;   in Loop: Header=BB18_5 Depth=1
	v_lshl_add_u64 v[10:11], s[16:17], 2, v[16:17]
	global_load_dword v12, v[10:11], off
	s_waitcnt vmcnt(0)
	v_cmp_lt_i32_e32 vcc, 0, v12
	s_and_saveexec_b64 s[16:17], vcc
	s_cbranch_execz .LBB18_4
; %bb.9:                                ;   in Loop: Header=BB18_5 Depth=1
	v_ashrrev_i32_e32 v19, 31, v18
	v_ashrrev_i32_e32 v15, 31, v14
	v_lshl_add_u64 v[12:13], v[18:19], 3, v[6:7]
	v_lshl_add_u64 v[18:19], v[18:19], 2, v[8:9]
	;; [unrolled: 1-line block ×4, first 2 shown]
	s_mov_b32 s20, 0
	s_mov_b64 s[18:19], 0
.LBB18_10:                              ;   Parent Loop BB18_5 Depth=1
                                        ; =>  This Inner Loop Header: Depth=2
	global_load_dword v15, v[18:19], off
	s_add_i32 s20, s20, 1
	v_lshl_add_u64 v[18:19], v[18:19], 0, 4
	s_waitcnt vmcnt(0)
	global_store_dword v[24:25], v15, off
	global_load_dword v28, v[10:11], off
	global_load_dwordx2 v[26:27], v[12:13], off
	v_lshl_add_u64 v[12:13], v[12:13], 0, 8
	v_add_u32_e32 v15, s20, v14
	v_lshl_add_u64 v[24:25], v[24:25], 0, 4
	s_waitcnt vmcnt(1)
	v_cmp_ge_i32_e32 vcc, s20, v28
	s_waitcnt vmcnt(0)
	global_store_dwordx2 v[22:23], v[26:27], off
	v_lshl_add_u64 v[22:23], v[22:23], 0, 8
	s_or_b64 s[18:19], vcc, s[18:19]
	s_andn2_b64 exec, exec, s[18:19]
	s_cbranch_execnz .LBB18_10
; %bb.11:                               ;   in Loop: Header=BB18_5 Depth=1
	s_or_b64 exec, exec, s[18:19]
	v_mov_b32_e32 v14, v15
	s_branch .LBB18_4
.LBB18_12:
                                        ; implicit-def: $vgpr14
	v_lshl_add_u64 v[2:3], v[2:3], 3, s[8:9]
	v_lshl_add_u64 v[4:5], v[4:5], 2, s[12:13]
	s_branch .LBB18_15
.LBB18_13:
	s_or_b64 exec, exec, s[10:11]
.LBB18_14:
	s_or_b64 exec, exec, s[6:7]
	v_lshl_add_u64 v[2:3], v[2:3], 3, s[8:9]
	v_lshl_add_u64 v[4:5], v[4:5], 2, s[12:13]
	s_cbranch_execnz .LBB18_53
.LBB18_15:
	v_mov_b32_e32 v6, s22
	v_mov_b32_e32 v7, s23
	v_lshl_add_u64 v[6:7], v[0:1], 3, v[6:7]
	global_load_dwordx2 v[6:7], v[6:7], off
	s_load_dwordx4 s[8:11], s[0:1], 0x90
	v_lshlrev_b32_e32 v18, 1, v0
	v_mul_lo_u32 v14, v18, s30
	v_ashrrev_i32_e32 v15, 31, v14
                                        ; implicit-def: $sgpr6_sgpr7
	s_and_saveexec_b64 s[14:15], s[2:3]
	s_xor_b64 s[2:3], exec, s[14:15]
; %bb.16:
	s_ashr_i32 s7, s30, 31
	s_mov_b32 s6, s30
                                        ; implicit-def: $vgpr32
                                        ; implicit-def: $vgpr16_vgpr17
                                        ; implicit-def: $vgpr20_vgpr21
; %bb.17:
	s_or_saveexec_b64 s[2:3], s[2:3]
	v_mov_b32_e32 v12, 0
	v_mov_b64_e32 v[22:23], s[6:7]
	s_waitcnt lgkmcnt(0)
	v_lshl_add_u64 v[8:9], v[14:15], 3, s[8:9]
	v_lshl_add_u64 v[10:11], v[14:15], 2, s[10:11]
	s_xor_b64 exec, exec, s[2:3]
	s_cbranch_execz .LBB18_28
; %bb.18:
	s_ashr_i32 s7, s30, 31
	s_mov_b32 s6, s30
	s_mov_b32 s19, 0
	s_lshl_b64 s[14:15], s[6:7], 3
	s_mov_b64 s[16:17], 0
	v_mov_b32_e32 v12, 0
	s_mov_b32 s18, s19
	s_branch .LBB18_20
.LBB18_19:                              ;   in Loop: Header=BB18_20 Depth=1
	s_or_b64 exec, exec, s[20:21]
	s_add_i32 s18, s18, 1
	v_cmp_eq_u32_e32 vcc, s18, v32
	s_or_b64 s[16:17], vcc, s[16:17]
	s_andn2_b64 exec, exec, s[16:17]
	s_cbranch_execz .LBB18_27
.LBB18_20:                              ; =>This Loop Header: Depth=1
                                        ;     Child Loop BB18_25 Depth 2
	s_cmp_eq_u32 s18, 0
	s_cbranch_scc1 .LBB18_22
; %bb.21:                               ;   in Loop: Header=BB18_20 Depth=1
	v_lshl_add_u64 v[22:23], s[18:19], 2, v[20:21]
	global_load_dword v26, v[22:23], off offset:-4
	s_mov_b64 s[20:21], s[18:19]
	s_branch .LBB18_23
.LBB18_22:                              ;   in Loop: Header=BB18_20 Depth=1
	v_mov_b32_e32 v26, 0
	s_mov_b64 s[20:21], 0
.LBB18_23:                              ;   in Loop: Header=BB18_20 Depth=1
	v_lshl_add_u64 v[22:23], s[20:21], 2, v[16:17]
	global_load_dword v13, v[22:23], off
	s_waitcnt vmcnt(0)
	v_cmp_lt_i32_e32 vcc, 0, v13
	s_and_saveexec_b64 s[20:21], vcc
	s_cbranch_execz .LBB18_19
; %bb.24:                               ;   in Loop: Header=BB18_20 Depth=1
	v_ashrrev_i32_e32 v27, 31, v26
	v_ashrrev_i32_e32 v13, 31, v12
	v_lshl_add_u64 v[24:25], v[26:27], 3, v[2:3]
	v_lshl_add_u64 v[26:27], v[26:27], 2, v[4:5]
	v_lshl_add_u64 v[28:29], v[12:13], 3, v[8:9]
	v_lshl_add_u64 v[30:31], v[12:13], 2, v[10:11]
	s_mov_b32 s28, 0
	s_mov_b64 s[22:23], 0
.LBB18_25:                              ;   Parent Loop BB18_20 Depth=1
                                        ; =>  This Inner Loop Header: Depth=2
	global_load_dword v13, v[26:27], off
	s_add_i32 s28, s28, 1
	v_lshl_add_u64 v[36:37], v[28:29], 0, s[14:15]
	v_lshl_add_u64 v[26:27], v[26:27], 0, 4
	s_waitcnt vmcnt(0)
	global_store_dword v[30:31], v13, off
	global_load_dword v19, v[22:23], off
	global_load_dwordx2 v[34:35], v[24:25], off
	v_lshl_add_u64 v[24:25], v[24:25], 0, 8
	v_add_u32_e32 v13, s28, v12
	v_lshl_add_u64 v[30:31], v[30:31], 0, 4
	s_waitcnt vmcnt(0)
	global_store_dwordx2 v[28:29], v[34:35], off
	global_store_dwordx2 v[36:37], v[34:35], off
	v_cmp_ge_i32_e32 vcc, s28, v19
	v_lshl_add_u64 v[28:29], v[28:29], 0, 8
	s_or_b64 s[22:23], vcc, s[22:23]
	s_andn2_b64 exec, exec, s[22:23]
	s_cbranch_execnz .LBB18_25
; %bb.26:                               ;   in Loop: Header=BB18_20 Depth=1
	s_or_b64 exec, exec, s[22:23]
	v_mov_b32_e32 v12, v13
	s_branch .LBB18_19
.LBB18_27:
	s_or_b64 exec, exec, s[16:17]
	v_mov_b64_e32 v[22:23], s[6:7]
.LBB18_28:
	s_or_b64 exec, exec, s[2:3]
; %bb.29:
	v_lshl_add_u64 v[16:17], v[22:23], 3, v[8:9]
	s_mov_b32 s6, 1
	v_cmp_lt_i32_e32 vcc, 1, v12
	s_and_saveexec_b64 s[14:15], vcc
	s_cbranch_execz .LBB18_37
; %bb.30:
	s_cmp_lg_u64 s[10:11], 0
	v_lshlrev_b64 v[14:15], 3, v[14:15]
	v_lshl_add_u64 v[14:15], v[22:23], 3, v[14:15]
	s_cselect_b64 s[2:3], -1, 0
	v_lshl_add_u64 v[14:15], s[8:9], 0, v[14:15]
	v_cndmask_b32_e64 v13, 0, 1, s[2:3]
	v_lshl_add_u64 v[20:21], v[22:23], 2, v[10:11]
	s_mov_b64 s[16:17], 0
	v_lshl_add_u64 v[14:15], v[14:15], 0, 8
	v_cmp_ne_u32_e64 s[2:3], 1, v13
	s_branch .LBB18_32
.LBB18_31:                              ;   in Loop: Header=BB18_32 Depth=1
	s_or_b64 exec, exec, s[8:9]
	s_add_i32 s6, s6, 1
	v_cmp_eq_u32_e32 vcc, s6, v12
	s_or_b64 s[16:17], vcc, s[16:17]
	v_lshl_add_u64 v[14:15], v[14:15], 0, 8
	s_andn2_b64 exec, exec, s[16:17]
	s_cbranch_execz .LBB18_37
.LBB18_32:                              ; =>This Loop Header: Depth=1
                                        ;     Child Loop BB18_33 Depth 2
	s_ashr_i32 s7, s6, 31
	v_lshl_add_u64 v[24:25], s[6:7], 3, v[16:17]
	global_load_dwordx2 v[26:27], v[24:25], off offset:-8
	s_add_i32 s10, s6, -1
	v_mov_b32_e32 v22, s10
	s_mov_b64 s[8:9], 0
	v_mov_b64_e32 v[30:31], v[14:15]
	s_mov_b32 s11, s6
	s_waitcnt vmcnt(0)
	v_mov_b64_e32 v[28:29], v[26:27]
.LBB18_33:                              ;   Parent Loop BB18_32 Depth=1
                                        ; =>  This Inner Loop Header: Depth=2
	global_load_dwordx2 v[32:33], v[30:31], off
	v_mov_b32_e32 v13, s11
	s_add_i32 s11, s11, 1
	v_cmp_eq_u32_e32 vcc, s11, v12
	s_or_b64 s[8:9], vcc, s[8:9]
	v_lshl_add_u64 v[30:31], v[30:31], 0, 8
	s_waitcnt vmcnt(0)
	v_cmp_lt_f64_e32 vcc, v[32:33], v[28:29]
	s_nop 1
	v_cndmask_b32_e32 v29, v29, v33, vcc
	v_cndmask_b32_e32 v28, v28, v32, vcc
	;; [unrolled: 1-line block ×3, first 2 shown]
	s_andn2_b64 exec, exec, s[8:9]
	s_cbranch_execnz .LBB18_33
; %bb.34:                               ;   in Loop: Header=BB18_32 Depth=1
	s_or_b64 exec, exec, s[8:9]
	v_cmp_ne_u32_e32 vcc, s10, v22
	s_and_saveexec_b64 s[8:9], vcc
	s_cbranch_execz .LBB18_31
; %bb.35:                               ;   in Loop: Header=BB18_32 Depth=1
	v_ashrrev_i32_e32 v23, 31, v22
	v_lshl_add_u64 v[30:31], v[22:23], 3, v[16:17]
	s_and_b64 vcc, exec, s[2:3]
	global_store_dwordx2 v[30:31], v[26:27], off
	global_store_dwordx2 v[24:25], v[28:29], off offset:-8
	s_cbranch_vccnz .LBB18_31
; %bb.36:                               ;   in Loop: Header=BB18_32 Depth=1
	v_lshl_add_u64 v[24:25], s[6:7], 2, v[20:21]
	v_lshl_add_u64 v[22:23], v[22:23], 2, v[20:21]
	global_load_dword v13, v[24:25], off offset:-4
	global_load_dword v19, v[22:23], off
	s_waitcnt vmcnt(1)
	global_store_dword v[22:23], v13, off
	s_waitcnt vmcnt(1)
	global_store_dword v[24:25], v19, off offset:-4
	s_branch .LBB18_31
.LBB18_37:
	s_or_b64 exec, exec, s[14:15]
	v_mov_b32_e32 v14, 0
	v_cmp_lt_i32_e32 vcc, 0, v12
	s_and_saveexec_b64 s[6:7], vcc
	s_cbranch_execz .LBB18_52
; %bb.38:
	s_load_dwordx4 s[8:11], s[0:1], 0x18
	s_add_i32 s22, s30, -1
	v_mul_lo_u32 v22, v0, s22
	v_mov_b32_e32 v14, s24
	v_mov_b32_e32 v15, s25
	s_waitcnt lgkmcnt(0)
	s_ashr_i32 s1, s10, 31
	s_mov_b32 s0, s10
	v_mad_i64_i32 v[20:21], s[2:3], v0, s11, 0
	v_lshlrev_b64 v[26:27], 3, v[20:21]
	s_lshl_b64 s[0:1], s[0:1], 3
	v_lshl_add_u64 v[20:21], s[8:9], 0, v[26:27]
	s_cmp_gt_i32 s30, 1
	v_lshl_add_u64 v[20:21], v[20:21], 0, s[0:1]
	s_cselect_b64 s[2:3], -1, 0
	s_add_u32 s0, s8, s0
	v_ashrrev_i32_e32 v23, 31, v22
	s_addc_u32 s1, s9, s1
	v_mov_b32_e32 v24, s26
	v_mov_b32_e32 v25, s27
	v_lshl_add_u64 v[22:23], v[22:23], 3, v[14:15]
	v_ashrrev_i32_e32 v19, 31, v18
	v_lshl_add_u64 v[14:15], s[0:1], 0, v[26:27]
	v_lshl_add_u64 v[18:19], v[18:19], 3, v[24:25]
	;; [unrolled: 1-line block ×3, first 2 shown]
	s_mov_b32 s11, 0
	v_cndmask_b32_e64 v15, 0, 1, s[2:3]
	v_add_u32_e32 v13, -1, v12
	s_mov_b64 s[8:9], 0
	v_mov_b32_e32 v14, 0
	v_cmp_ne_u32_e64 s[0:1], 1, v15
	s_waitcnt vmcnt(0)
	v_xor_b32_e32 v36, 0x80000000, v7
	s_mov_b32 s10, s11
	s_branch .LBB18_41
.LBB18_39:                              ;   in Loop: Header=BB18_41 Depth=1
	s_or_b64 exec, exec, s[2:3]
.LBB18_40:                              ;   in Loop: Header=BB18_41 Depth=1
	s_or_b64 exec, exec, s[14:15]
	s_add_i32 s10, s10, 1
	v_cmp_eq_u32_e32 vcc, s10, v12
	s_or_b64 s[8:9], vcc, s[8:9]
	s_andn2_b64 exec, exec, s[8:9]
	s_cbranch_execz .LBB18_51
.LBB18_41:                              ; =>This Loop Header: Depth=1
                                        ;     Child Loop BB18_43 Depth 2
                                        ;     Child Loop BB18_48 Depth 2
	v_lshl_add_u64 v[26:27], s[10:11], 3, v[8:9]
	global_load_dwordx2 v[26:27], v[26:27], off
	s_mov_b64 s[14:15], 0
	v_mov_b64_e32 v[32:33], v[16:17]
	s_mov_b32 s23, s11
                                        ; implicit-def: $sgpr2_sgpr3
                                        ; implicit-def: $sgpr18_sgpr19
                                        ; implicit-def: $sgpr16_sgpr17
	s_branch .LBB18_43
.LBB18_42:                              ;   in Loop: Header=BB18_43 Depth=2
	s_or_b64 exec, exec, s[20:21]
	s_and_b64 s[20:21], exec, s[18:19]
	s_or_b64 s[14:15], s[20:21], s[14:15]
	s_andn2_b64 s[2:3], s[2:3], exec
	s_and_b64 s[20:21], s[16:17], exec
	v_mov_b32_e32 v15, s23
	s_or_b64 s[2:3], s[2:3], s[20:21]
	s_mov_b32 s23, s24
	s_andn2_b64 exec, exec, s[14:15]
	s_cbranch_execz .LBB18_45
.LBB18_43:                              ;   Parent Loop BB18_41 Depth=1
                                        ; =>  This Inner Loop Header: Depth=2
	global_load_dwordx2 v[28:29], v[32:33], off
	v_mov_b64_e32 v[30:31], v[32:33]
	s_or_b64 s[16:17], s[16:17], exec
	s_or_b64 s[18:19], s[18:19], exec
                                        ; implicit-def: $sgpr24
                                        ; implicit-def: $vgpr32_vgpr33
	s_waitcnt vmcnt(0)
	v_cmp_neq_f64_e32 vcc, v[26:27], v[28:29]
	s_and_saveexec_b64 s[20:21], vcc
	s_cbranch_execz .LBB18_42
; %bb.44:                               ;   in Loop: Header=BB18_43 Depth=2
	s_add_i32 s24, s23, 1
	v_cmp_eq_u32_e32 vcc, s24, v12
	s_andn2_b64 s[18:19], s[18:19], exec
	s_and_b64 s[26:27], vcc, exec
	v_lshl_add_u64 v[32:33], v[30:31], 0, 8
	s_andn2_b64 s[16:17], s[16:17], exec
	s_or_b64 s[18:19], s[18:19], s[26:27]
	s_branch .LBB18_42
.LBB18_45:                              ;   in Loop: Header=BB18_41 Depth=1
	s_or_b64 exec, exec, s[14:15]
	s_and_saveexec_b64 s[14:15], s[2:3]
	s_xor_b64 s[14:15], exec, s[14:15]
	s_cbranch_execz .LBB18_40
; %bb.46:                               ;   in Loop: Header=BB18_41 Depth=1
	v_cmp_eq_u32_e32 vcc, v15, v13
	s_nop 1
	v_cndmask_b32_e32 v31, v31, v19, vcc
	v_cndmask_b32_e32 v30, v30, v18, vcc
	global_load_dwordx2 v[32:33], v[30:31], off offset:8
	global_load_dwordx2 v[34:35], v[20:21], off
	s_and_b64 vcc, exec, s[0:1]
	s_waitcnt vmcnt(1)
	v_add_f64 v[28:29], v[32:33], -v[28:29]
	v_fma_f64 v[28:29], 0.5, v[28:29], v[26:27]
	s_waitcnt vmcnt(0)
	v_add_f64 v[30:31], v[34:35], -v[28:29]
	v_cmp_le_f64_e64 s[2:3], v[30:31], v[6:7]
	s_nop 1
	v_cndmask_b32_e64 v15, 0, 1, s[2:3]
	s_cbranch_vccnz .LBB18_49
; %bb.47:                               ;   in Loop: Header=BB18_41 Depth=1
	v_cmp_gt_f64_e64 s[16:17], v[30:31], -v[6:7]
	s_and_b64 vcc, s[2:3], s[16:17]
	v_cndmask_b32_e32 v35, v31, v36, vcc
	v_cndmask_b32_e32 v34, v30, v6, vcc
	v_mov_b64_e32 v[30:31], v[22:23]
	v_mov_b64_e32 v[32:33], v[24:25]
	s_mov_b32 s16, s22
.LBB18_48:                              ;   Parent Loop BB18_41 Depth=1
                                        ; =>  This Inner Loop Header: Depth=2
	global_load_dwordx2 v[38:39], v[30:31], off
	global_load_dwordx2 v[40:41], v[32:33], off
	s_add_i32 s16, s16, -1
	v_lshl_add_u64 v[32:33], v[32:33], 0, 8
	v_lshl_add_u64 v[30:31], v[30:31], 0, 8
	s_waitcnt vmcnt(1)
	v_div_scale_f64 v[42:43], s[2:3], v[34:35], v[34:35], v[38:39]
	v_rcp_f64_e32 v[46:47], v[42:43]
	v_div_scale_f64 v[44:45], vcc, v[38:39], v[34:35], v[38:39]
	s_waitcnt vmcnt(0)
	v_add_f64 v[40:41], v[40:41], -v[28:29]
	v_fma_f64 v[48:49], -v[42:43], v[46:47], 1.0
	v_fmac_f64_e32 v[46:47], v[46:47], v[48:49]
	v_fma_f64 v[48:49], -v[42:43], v[46:47], 1.0
	v_fmac_f64_e32 v[46:47], v[46:47], v[48:49]
	v_mul_f64 v[48:49], v[44:45], v[46:47]
	v_fma_f64 v[42:43], -v[42:43], v[48:49], v[44:45]
	v_div_fmas_f64 v[42:43], v[42:43], v[46:47], v[48:49]
	v_div_fixup_f64 v[34:35], v[42:43], v[34:35], v[38:39]
	v_add_f64 v[34:35], v[40:41], -v[34:35]
	v_cmp_gt_f64_e64 s[18:19], v[34:35], -v[6:7]
	v_cmp_le_f64_e32 vcc, v[34:35], v[6:7]
	s_nop 1
	v_addc_co_u32_e64 v15, s[2:3], 0, v15, vcc
	s_and_b64 vcc, vcc, s[18:19]
	v_cndmask_b32_e32 v35, v35, v36, vcc
	s_cmp_lg_u32 s16, 0
	v_cndmask_b32_e32 v34, v34, v6, vcc
	s_cbranch_scc1 .LBB18_48
.LBB18_49:                              ;   in Loop: Header=BB18_41 Depth=1
	v_cmp_le_i32_e32 vcc, s31, v15
	v_cmp_ge_i32_e64 s[2:3], s33, v15
	s_and_b64 s[16:17], vcc, s[2:3]
	s_and_saveexec_b64 s[2:3], s[16:17]
	s_cbranch_execz .LBB18_39
; %bb.50:                               ;   in Loop: Header=BB18_41 Depth=1
	v_lshl_add_u64 v[28:29], s[10:11], 2, v[10:11]
	global_load_dword v32, v[28:29], off
	v_ashrrev_i32_e32 v15, 31, v14
	v_lshl_add_u64 v[28:29], v[14:15], 3, v[2:3]
	v_lshl_add_u64 v[30:31], v[14:15], 2, v[4:5]
	v_add_u32_e32 v14, 1, v14
	global_store_dwordx2 v[28:29], v[26:27], off
	s_waitcnt vmcnt(1)
	global_store_dword v[30:31], v32, off
	s_branch .LBB18_39
.LBB18_51:
	s_or_b64 exec, exec, s[8:9]
.LBB18_52:
	s_or_b64 exec, exec, s[6:7]
.LBB18_53:
	s_cmpk_eq_i32 s29, 0xf2
	s_waitcnt vmcnt(0)
	v_mov_b32_e32 v6, s4
	v_mov_b32_e32 v7, s5
	s_cselect_b64 s[0:1], -1, 0
	v_cmp_lt_i32_e32 vcc, 1, v14
	v_lshl_add_u64 v[0:1], v[0:1], 2, v[6:7]
	s_mov_b32 s2, 1
	s_and_b64 s[0:1], s[0:1], vcc
	global_store_dword v[0:1], v14, off
	s_and_b64 exec, exec, s[0:1]
	s_cbranch_execz .LBB18_61
; %bb.54:
	s_cmp_lg_u64 s[12:13], 0
	s_cselect_b64 s[0:1], -1, 0
	v_cndmask_b32_e64 v6, 0, 1, s[0:1]
	s_mov_b64 s[4:5], 0
	v_lshl_add_u64 v[0:1], v[2:3], 0, 8
	v_cmp_ne_u32_e64 s[0:1], 1, v6
	s_branch .LBB18_56
.LBB18_55:                              ;   in Loop: Header=BB18_56 Depth=1
	s_or_b64 exec, exec, s[6:7]
	s_add_i32 s2, s2, 1
	v_cmp_eq_u32_e32 vcc, s2, v14
	s_or_b64 s[4:5], vcc, s[4:5]
	v_lshl_add_u64 v[0:1], v[0:1], 0, 8
	s_andn2_b64 exec, exec, s[4:5]
	s_cbranch_execz .LBB18_61
.LBB18_56:                              ; =>This Loop Header: Depth=1
                                        ;     Child Loop BB18_57 Depth 2
	s_ashr_i32 s3, s2, 31
	v_lshl_add_u64 v[8:9], s[2:3], 3, v[2:3]
	global_load_dwordx2 v[10:11], v[8:9], off offset:-8
	s_add_i32 s8, s2, -1
	v_mov_b32_e32 v6, s8
	s_mov_b64 s[6:7], 0
	v_mov_b64_e32 v[16:17], v[0:1]
	s_mov_b32 s9, s2
	s_waitcnt vmcnt(0)
	v_mov_b64_e32 v[12:13], v[10:11]
.LBB18_57:                              ;   Parent Loop BB18_56 Depth=1
                                        ; =>  This Inner Loop Header: Depth=2
	global_load_dwordx2 v[18:19], v[16:17], off
	v_mov_b32_e32 v7, s9
	s_add_i32 s9, s9, 1
	v_cmp_eq_u32_e32 vcc, s9, v14
	s_or_b64 s[6:7], vcc, s[6:7]
	v_lshl_add_u64 v[16:17], v[16:17], 0, 8
	s_waitcnt vmcnt(0)
	v_cmp_lt_f64_e32 vcc, v[18:19], v[12:13]
	s_nop 1
	v_cndmask_b32_e32 v13, v13, v19, vcc
	v_cndmask_b32_e32 v12, v12, v18, vcc
	;; [unrolled: 1-line block ×3, first 2 shown]
	s_andn2_b64 exec, exec, s[6:7]
	s_cbranch_execnz .LBB18_57
; %bb.58:                               ;   in Loop: Header=BB18_56 Depth=1
	s_or_b64 exec, exec, s[6:7]
	v_cmp_ne_u32_e32 vcc, s8, v6
	s_and_saveexec_b64 s[6:7], vcc
	s_cbranch_execz .LBB18_55
; %bb.59:                               ;   in Loop: Header=BB18_56 Depth=1
	v_ashrrev_i32_e32 v7, 31, v6
	v_lshl_add_u64 v[16:17], v[6:7], 3, v[2:3]
	s_and_b64 vcc, exec, s[0:1]
	global_store_dwordx2 v[16:17], v[10:11], off
	global_store_dwordx2 v[8:9], v[12:13], off offset:-8
	s_cbranch_vccnz .LBB18_55
; %bb.60:                               ;   in Loop: Header=BB18_56 Depth=1
	v_lshl_add_u64 v[8:9], s[2:3], 2, v[4:5]
	v_lshl_add_u64 v[6:7], v[6:7], 2, v[4:5]
	global_load_dword v10, v[8:9], off offset:-4
	global_load_dword v11, v[6:7], off
	s_waitcnt vmcnt(1)
	global_store_dword v[6:7], v10, off
	s_waitcnt vmcnt(1)
	global_store_dword v[8:9], v11, off offset:-4
	s_branch .LBB18_55
.LBB18_61:
	s_endpgm
	.section	.rodata,"a",@progbits
	.p2align	6, 0x0
	.amdhsa_kernel _ZN9rocsolver6v33100L22stebz_synthesis_kernelIdPdEEv15rocblas_erange_15rocblas_eorder_iiiT0_iiPiS6_PT_lS6_lS6_liS6_S8_S8_S8_S8_S6_S7_
		.amdhsa_group_segment_fixed_size 0
		.amdhsa_private_segment_fixed_size 0
		.amdhsa_kernarg_size 424
		.amdhsa_user_sgpr_count 2
		.amdhsa_user_sgpr_dispatch_ptr 0
		.amdhsa_user_sgpr_queue_ptr 0
		.amdhsa_user_sgpr_kernarg_segment_ptr 1
		.amdhsa_user_sgpr_dispatch_id 0
		.amdhsa_user_sgpr_kernarg_preload_length 0
		.amdhsa_user_sgpr_kernarg_preload_offset 0
		.amdhsa_user_sgpr_private_segment_size 0
		.amdhsa_uses_dynamic_stack 0
		.amdhsa_enable_private_segment 0
		.amdhsa_system_sgpr_workgroup_id_x 1
		.amdhsa_system_sgpr_workgroup_id_y 0
		.amdhsa_system_sgpr_workgroup_id_z 0
		.amdhsa_system_sgpr_workgroup_info 0
		.amdhsa_system_vgpr_workitem_id 0
		.amdhsa_next_free_vgpr 50
		.amdhsa_next_free_sgpr 34
		.amdhsa_accum_offset 52
		.amdhsa_reserve_vcc 1
		.amdhsa_float_round_mode_32 0
		.amdhsa_float_round_mode_16_64 0
		.amdhsa_float_denorm_mode_32 3
		.amdhsa_float_denorm_mode_16_64 3
		.amdhsa_dx10_clamp 1
		.amdhsa_ieee_mode 1
		.amdhsa_fp16_overflow 0
		.amdhsa_tg_split 0
		.amdhsa_exception_fp_ieee_invalid_op 0
		.amdhsa_exception_fp_denorm_src 0
		.amdhsa_exception_fp_ieee_div_zero 0
		.amdhsa_exception_fp_ieee_overflow 0
		.amdhsa_exception_fp_ieee_underflow 0
		.amdhsa_exception_fp_ieee_inexact 0
		.amdhsa_exception_int_div_zero 0
	.end_amdhsa_kernel
	.section	.text._ZN9rocsolver6v33100L22stebz_synthesis_kernelIdPdEEv15rocblas_erange_15rocblas_eorder_iiiT0_iiPiS6_PT_lS6_lS6_liS6_S8_S8_S8_S8_S6_S7_,"axG",@progbits,_ZN9rocsolver6v33100L22stebz_synthesis_kernelIdPdEEv15rocblas_erange_15rocblas_eorder_iiiT0_iiPiS6_PT_lS6_lS6_liS6_S8_S8_S8_S8_S6_S7_,comdat
.Lfunc_end18:
	.size	_ZN9rocsolver6v33100L22stebz_synthesis_kernelIdPdEEv15rocblas_erange_15rocblas_eorder_iiiT0_iiPiS6_PT_lS6_lS6_liS6_S8_S8_S8_S8_S6_S7_, .Lfunc_end18-_ZN9rocsolver6v33100L22stebz_synthesis_kernelIdPdEEv15rocblas_erange_15rocblas_eorder_iiiT0_iiPiS6_PT_lS6_lS6_liS6_S8_S8_S8_S8_S6_S7_
                                        ; -- End function
	.set _ZN9rocsolver6v33100L22stebz_synthesis_kernelIdPdEEv15rocblas_erange_15rocblas_eorder_iiiT0_iiPiS6_PT_lS6_lS6_liS6_S8_S8_S8_S8_S6_S7_.num_vgpr, 50
	.set _ZN9rocsolver6v33100L22stebz_synthesis_kernelIdPdEEv15rocblas_erange_15rocblas_eorder_iiiT0_iiPiS6_PT_lS6_lS6_liS6_S8_S8_S8_S8_S6_S7_.num_agpr, 0
	.set _ZN9rocsolver6v33100L22stebz_synthesis_kernelIdPdEEv15rocblas_erange_15rocblas_eorder_iiiT0_iiPiS6_PT_lS6_lS6_liS6_S8_S8_S8_S8_S6_S7_.numbered_sgpr, 34
	.set _ZN9rocsolver6v33100L22stebz_synthesis_kernelIdPdEEv15rocblas_erange_15rocblas_eorder_iiiT0_iiPiS6_PT_lS6_lS6_liS6_S8_S8_S8_S8_S6_S7_.num_named_barrier, 0
	.set _ZN9rocsolver6v33100L22stebz_synthesis_kernelIdPdEEv15rocblas_erange_15rocblas_eorder_iiiT0_iiPiS6_PT_lS6_lS6_liS6_S8_S8_S8_S8_S6_S7_.private_seg_size, 0
	.set _ZN9rocsolver6v33100L22stebz_synthesis_kernelIdPdEEv15rocblas_erange_15rocblas_eorder_iiiT0_iiPiS6_PT_lS6_lS6_liS6_S8_S8_S8_S8_S6_S7_.uses_vcc, 1
	.set _ZN9rocsolver6v33100L22stebz_synthesis_kernelIdPdEEv15rocblas_erange_15rocblas_eorder_iiiT0_iiPiS6_PT_lS6_lS6_liS6_S8_S8_S8_S8_S6_S7_.uses_flat_scratch, 0
	.set _ZN9rocsolver6v33100L22stebz_synthesis_kernelIdPdEEv15rocblas_erange_15rocblas_eorder_iiiT0_iiPiS6_PT_lS6_lS6_liS6_S8_S8_S8_S8_S6_S7_.has_dyn_sized_stack, 0
	.set _ZN9rocsolver6v33100L22stebz_synthesis_kernelIdPdEEv15rocblas_erange_15rocblas_eorder_iiiT0_iiPiS6_PT_lS6_lS6_liS6_S8_S8_S8_S8_S6_S7_.has_recursion, 0
	.set _ZN9rocsolver6v33100L22stebz_synthesis_kernelIdPdEEv15rocblas_erange_15rocblas_eorder_iiiT0_iiPiS6_PT_lS6_lS6_liS6_S8_S8_S8_S8_S6_S7_.has_indirect_call, 0
	.section	.AMDGPU.csdata,"",@progbits
; Kernel info:
; codeLenInByte = 2572
; TotalNumSgprs: 40
; NumVgprs: 50
; NumAgprs: 0
; TotalNumVgprs: 50
; ScratchSize: 0
; MemoryBound: 0
; FloatMode: 240
; IeeeMode: 1
; LDSByteSize: 0 bytes/workgroup (compile time only)
; SGPRBlocks: 4
; VGPRBlocks: 6
; NumSGPRsForWavesPerEU: 40
; NumVGPRsForWavesPerEU: 50
; AccumOffset: 52
; Occupancy: 8
; WaveLimiterHint : 1
; COMPUTE_PGM_RSRC2:SCRATCH_EN: 0
; COMPUTE_PGM_RSRC2:USER_SGPR: 2
; COMPUTE_PGM_RSRC2:TRAP_HANDLER: 0
; COMPUTE_PGM_RSRC2:TGID_X_EN: 1
; COMPUTE_PGM_RSRC2:TGID_Y_EN: 0
; COMPUTE_PGM_RSRC2:TGID_Z_EN: 0
; COMPUTE_PGM_RSRC2:TIDIG_COMP_CNT: 0
; COMPUTE_PGM_RSRC3_GFX90A:ACCUM_OFFSET: 12
; COMPUTE_PGM_RSRC3_GFX90A:TG_SPLIT: 0
	.section	.text._ZN9rocsolver6v33100L15bdsvdx_abs_eigsIdEEviPiPT_lS4_,"axG",@progbits,_ZN9rocsolver6v33100L15bdsvdx_abs_eigsIdEEviPiPT_lS4_,comdat
	.globl	_ZN9rocsolver6v33100L15bdsvdx_abs_eigsIdEEviPiPT_lS4_ ; -- Begin function _ZN9rocsolver6v33100L15bdsvdx_abs_eigsIdEEviPiPT_lS4_
	.p2align	8
	.type	_ZN9rocsolver6v33100L15bdsvdx_abs_eigsIdEEviPiPT_lS4_,@function
_ZN9rocsolver6v33100L15bdsvdx_abs_eigsIdEEviPiPT_lS4_: ; @_ZN9rocsolver6v33100L15bdsvdx_abs_eigsIdEEviPiPT_lS4_
; %bb.0:
	s_mov_b32 s12, s3
	s_load_dwordx8 s[4:11], s[0:1], 0x8
	s_load_dword s3, s[0:1], 0x0
	s_ashr_i32 s13, s12, 31
	s_lshl_b64 s[14:15], s[12:13], 2
	s_waitcnt lgkmcnt(0)
	s_add_u32 s4, s4, s14
	s_addc_u32 s5, s5, s15
	s_load_dword s15, s[4:5], 0x0
	s_load_dword s14, s[0:1], 0x34
	s_waitcnt lgkmcnt(0)
	s_cmp_le_i32 s15, s3
	s_cbranch_scc1 .LBB19_2
; %bb.1:
	v_mov_b32_e32 v1, 0
	v_mov_b32_e32 v2, s3
	s_mov_b32 s15, s3
	global_store_dword v1, v2, s[4:5]
.LBB19_2:
	s_and_b32 s0, 0xffff, s14
	s_mul_i32 s2, s2, s0
	v_add_u32_e32 v0, s2, v0
	v_cmp_gt_i32_e32 vcc, s15, v0
	s_and_saveexec_b64 s[0:1], vcc
	s_cbranch_execz .LBB19_4
; %bb.3:
	s_mul_i32 s0, s8, s13
	s_mul_hi_u32 s1, s8, s12
	s_add_i32 s0, s1, s0
	s_mul_i32 s1, s9, s12
	s_add_i32 s1, s0, s1
	s_mul_i32 s0, s8, s12
	s_lshl_b64 s[0:1], s[0:1], 3
	s_add_u32 s0, s6, s0
	s_mul_i32 s2, s12, s3
	s_addc_u32 s1, s7, s1
	s_lshl_b32 s2, s2, 1
	s_ashr_i32 s3, s2, 31
	s_lshl_b64 s[2:3], s[2:3], 3
	s_add_u32 s2, s10, s2
	v_ashrrev_i32_e32 v1, 31, v0
	s_addc_u32 s3, s11, s3
	v_lshlrev_b64 v[0:1], 3, v[0:1]
	v_lshl_add_u64 v[2:3], s[2:3], 0, v[0:1]
	global_load_dwordx2 v[2:3], v[2:3], off
	v_lshl_add_u64 v[0:1], s[0:1], 0, v[0:1]
	s_waitcnt vmcnt(0)
	v_xor_b32_e32 v3, 0x80000000, v3
	global_store_dwordx2 v[0:1], v[2:3], off
.LBB19_4:
	s_endpgm
	.section	.rodata,"a",@progbits
	.p2align	6, 0x0
	.amdhsa_kernel _ZN9rocsolver6v33100L15bdsvdx_abs_eigsIdEEviPiPT_lS4_
		.amdhsa_group_segment_fixed_size 0
		.amdhsa_private_segment_fixed_size 0
		.amdhsa_kernarg_size 296
		.amdhsa_user_sgpr_count 2
		.amdhsa_user_sgpr_dispatch_ptr 0
		.amdhsa_user_sgpr_queue_ptr 0
		.amdhsa_user_sgpr_kernarg_segment_ptr 1
		.amdhsa_user_sgpr_dispatch_id 0
		.amdhsa_user_sgpr_kernarg_preload_length 0
		.amdhsa_user_sgpr_kernarg_preload_offset 0
		.amdhsa_user_sgpr_private_segment_size 0
		.amdhsa_uses_dynamic_stack 0
		.amdhsa_enable_private_segment 0
		.amdhsa_system_sgpr_workgroup_id_x 1
		.amdhsa_system_sgpr_workgroup_id_y 1
		.amdhsa_system_sgpr_workgroup_id_z 0
		.amdhsa_system_sgpr_workgroup_info 0
		.amdhsa_system_vgpr_workitem_id 0
		.amdhsa_next_free_vgpr 4
		.amdhsa_next_free_sgpr 16
		.amdhsa_accum_offset 4
		.amdhsa_reserve_vcc 1
		.amdhsa_float_round_mode_32 0
		.amdhsa_float_round_mode_16_64 0
		.amdhsa_float_denorm_mode_32 3
		.amdhsa_float_denorm_mode_16_64 3
		.amdhsa_dx10_clamp 1
		.amdhsa_ieee_mode 1
		.amdhsa_fp16_overflow 0
		.amdhsa_tg_split 0
		.amdhsa_exception_fp_ieee_invalid_op 0
		.amdhsa_exception_fp_denorm_src 0
		.amdhsa_exception_fp_ieee_div_zero 0
		.amdhsa_exception_fp_ieee_overflow 0
		.amdhsa_exception_fp_ieee_underflow 0
		.amdhsa_exception_fp_ieee_inexact 0
		.amdhsa_exception_int_div_zero 0
	.end_amdhsa_kernel
	.section	.text._ZN9rocsolver6v33100L15bdsvdx_abs_eigsIdEEviPiPT_lS4_,"axG",@progbits,_ZN9rocsolver6v33100L15bdsvdx_abs_eigsIdEEviPiPT_lS4_,comdat
.Lfunc_end19:
	.size	_ZN9rocsolver6v33100L15bdsvdx_abs_eigsIdEEviPiPT_lS4_, .Lfunc_end19-_ZN9rocsolver6v33100L15bdsvdx_abs_eigsIdEEviPiPT_lS4_
                                        ; -- End function
	.set _ZN9rocsolver6v33100L15bdsvdx_abs_eigsIdEEviPiPT_lS4_.num_vgpr, 4
	.set _ZN9rocsolver6v33100L15bdsvdx_abs_eigsIdEEviPiPT_lS4_.num_agpr, 0
	.set _ZN9rocsolver6v33100L15bdsvdx_abs_eigsIdEEviPiPT_lS4_.numbered_sgpr, 16
	.set _ZN9rocsolver6v33100L15bdsvdx_abs_eigsIdEEviPiPT_lS4_.num_named_barrier, 0
	.set _ZN9rocsolver6v33100L15bdsvdx_abs_eigsIdEEviPiPT_lS4_.private_seg_size, 0
	.set _ZN9rocsolver6v33100L15bdsvdx_abs_eigsIdEEviPiPT_lS4_.uses_vcc, 1
	.set _ZN9rocsolver6v33100L15bdsvdx_abs_eigsIdEEviPiPT_lS4_.uses_flat_scratch, 0
	.set _ZN9rocsolver6v33100L15bdsvdx_abs_eigsIdEEviPiPT_lS4_.has_dyn_sized_stack, 0
	.set _ZN9rocsolver6v33100L15bdsvdx_abs_eigsIdEEviPiPT_lS4_.has_recursion, 0
	.set _ZN9rocsolver6v33100L15bdsvdx_abs_eigsIdEEviPiPT_lS4_.has_indirect_call, 0
	.section	.AMDGPU.csdata,"",@progbits
; Kernel info:
; codeLenInByte = 236
; TotalNumSgprs: 22
; NumVgprs: 4
; NumAgprs: 0
; TotalNumVgprs: 4
; ScratchSize: 0
; MemoryBound: 0
; FloatMode: 240
; IeeeMode: 1
; LDSByteSize: 0 bytes/workgroup (compile time only)
; SGPRBlocks: 2
; VGPRBlocks: 0
; NumSGPRsForWavesPerEU: 22
; NumVGPRsForWavesPerEU: 4
; AccumOffset: 4
; Occupancy: 8
; WaveLimiterHint : 0
; COMPUTE_PGM_RSRC2:SCRATCH_EN: 0
; COMPUTE_PGM_RSRC2:USER_SGPR: 2
; COMPUTE_PGM_RSRC2:TRAP_HANDLER: 0
; COMPUTE_PGM_RSRC2:TGID_X_EN: 1
; COMPUTE_PGM_RSRC2:TGID_Y_EN: 1
; COMPUTE_PGM_RSRC2:TGID_Z_EN: 0
; COMPUTE_PGM_RSRC2:TIDIG_COMP_CNT: 0
; COMPUTE_PGM_RSRC3_GFX90A:ACCUM_OFFSET: 0
; COMPUTE_PGM_RSRC3_GFX90A:TG_SPLIT: 0
	.section	.text._ZN9rocsolver6v33100L12stein_kernelIddPdEEviPT0_lS4_lPiS4_lS5_lS5_lT1_iilS5_lS5_S4_S5_S3_S3_,"axG",@progbits,_ZN9rocsolver6v33100L12stein_kernelIddPdEEviPT0_lS4_lPiS4_lS5_lS5_lT1_iilS5_lS5_S4_S5_S3_S3_,comdat
	.globl	_ZN9rocsolver6v33100L12stein_kernelIddPdEEviPT0_lS4_lPiS4_lS5_lS5_lT1_iilS5_lS5_S4_S5_S3_S3_ ; -- Begin function _ZN9rocsolver6v33100L12stein_kernelIddPdEEviPT0_lS4_lPiS4_lS5_lS5_lT1_iilS5_lS5_S4_S5_S3_S3_
	.p2align	8
	.type	_ZN9rocsolver6v33100L12stein_kernelIddPdEEviPT0_lS4_lPiS4_lS5_lS5_lT1_iilS5_lS5_S4_S5_S3_S3_,@function
_ZN9rocsolver6v33100L12stein_kernelIddPdEEviPT0_lS4_lPiS4_lS5_lS5_lT1_iilS5_lS5_S4_S5_S3_S3_: ; @_ZN9rocsolver6v33100L12stein_kernelIddPdEEviPT0_lS4_lPiS4_lS5_lS5_lT1_iilS5_lS5_S4_S5_S3_S3_
; %bb.0:
	s_load_dwordx16 s[8:23], s[0:1], 0x8
	s_mov_b32 s4, s3
	s_ashr_i32 s5, s3, 31
	s_lshl_b64 s[6:7], s[4:5], 2
	s_waitcnt lgkmcnt(0)
	s_add_u32 s2, s16, s6
	s_addc_u32 s3, s17, s7
	s_load_dword s52, s[2:3], 0x0
	s_waitcnt lgkmcnt(0)
	s_cmp_lt_i32 s52, 1
	s_cbranch_scc1 .LBB20_248
; %bb.1:
	s_load_dwordx16 s[36:51], s[0:1], 0x70
                                        ; implicit-def: $vgpr64 : SGPR spill to VGPR lane
	s_mov_b64 s[72:73], 0
	v_writelane_b32 v64, s6, 0
	s_waitcnt lgkmcnt(0)
	s_cmp_eq_u64 s[38:39], 0
	v_writelane_b32 v64, s7, 1
	s_cbranch_scc1 .LBB20_3
; %bb.2:
	s_mul_i32 s2, s40, s5
	s_mul_hi_u32 s3, s40, s4
	s_add_i32 s2, s3, s2
	s_mul_i32 s3, s41, s4
	s_add_i32 s3, s2, s3
	s_mul_i32 s2, s40, s4
	s_lshl_b64 s[2:3], s[2:3], 2
	s_add_u32 s72, s38, s2
	s_addc_u32 s73, s39, s3
.LBB20_3:
	v_cmp_eq_u32_e64 s[16:17], 0, v0
	s_and_saveexec_b64 s[2:3], s[16:17]
; %bb.4:
	v_mov_b32_e32 v1, 0
	ds_write_b32 v1, v1
; %bb.5:
	s_or_b64 exec, exec, s[2:3]
	s_cmp_lg_u64 s[72:73], 0
	s_cselect_b64 s[2:3], -1, 0
	v_cmp_gt_u32_e32 vcc, s52, v0
	s_and_b64 s[24:25], vcc, s[2:3]
	s_and_saveexec_b64 s[6:7], s[24:25]
	s_cbranch_execz .LBB20_13
; %bb.6:
	v_xad_u32 v1, v0, -1, s52
	s_movk_i32 s24, 0xff
	v_cmp_lt_u32_e32 vcc, s24, v1
	s_mov_b64 s[26:27], -1
	v_mov_b32_e32 v2, v0
	s_and_saveexec_b64 s[24:25], vcc
	s_cbranch_execz .LBB20_10
; %bb.7:
	v_lshrrev_b32_e32 v1, 8, v1
	v_add_u32_e32 v6, 1, v1
	v_and_b32_e32 v7, 0x1fffffe, v6
	v_or_b32_e32 v1, 0x100, v0
	s_mov_b64 s[26:27], 0
	v_mov_b32_e32 v3, 0
	v_mov_b32_e32 v8, v7
	v_mov_b64_e32 v[4:5], v[0:1]
.LBB20_8:                               ; =>This Inner Loop Header: Depth=1
	v_mov_b32_e32 v2, v4
	v_add_u32_e32 v8, -2, v8
	v_lshl_add_u64 v[10:11], v[2:3], 2, s[72:73]
	v_mov_b32_e32 v2, v5
	v_cmp_eq_u32_e32 vcc, 0, v8
	v_add_u32_e32 v4, 0x200, v4
	v_add_u32_e32 v5, 0x200, v5
	v_lshl_add_u64 v[12:13], v[2:3], 2, s[72:73]
	s_or_b64 s[26:27], vcc, s[26:27]
	global_store_dword v[10:11], v3, off
	global_store_dword v[12:13], v3, off
	s_andn2_b64 exec, exec, s[26:27]
	s_cbranch_execnz .LBB20_8
; %bb.9:
	s_or_b64 exec, exec, s[26:27]
	v_cmp_ne_u32_e32 vcc, v6, v7
	v_lshl_or_b32 v2, v7, 8, v0
	s_orn2_b64 s[26:27], vcc, exec
.LBB20_10:
	s_or_b64 exec, exec, s[24:25]
	s_and_b64 exec, exec, s[26:27]
	s_cbranch_execz .LBB20_13
; %bb.11:
	v_mov_b32_e32 v3, 0
	v_lshl_add_u64 v[4:5], v[2:3], 2, s[72:73]
	s_mov_b64 s[24:25], 0
	s_mov_b64 s[26:27], 0x400
.LBB20_12:                              ; =>This Inner Loop Header: Depth=1
	v_add_u32_e32 v2, 0x100, v2
	v_cmp_le_i32_e32 vcc, s52, v2
	global_store_dword v[4:5], v3, off
	s_or_b64 s[24:25], vcc, s[24:25]
	v_lshl_add_u64 v[4:5], v[4:5], 0, s[26:27]
	s_andn2_b64 exec, exec, s[24:25]
	s_cbranch_execnz .LBB20_12
.LBB20_13:
	s_or_b64 exec, exec, s[6:7]
	s_load_dwordx8 s[24:31], s[0:1], 0x48
	s_mov_b32 s39, 0
	s_mov_b32 s53, s39
	v_mov_b32_e32 v3, 0
	s_waitcnt lgkmcnt(0)
	s_mul_i32 s7, s24, s5
	s_mul_hi_u32 s33, s24, s4
	s_mul_i32 s25, s25, s4
	s_add_i32 s7, s33, s7
	s_mul_i32 s6, s24, s4
	s_add_i32 s7, s7, s25
	s_lshl_b64 s[6:7], s[6:7], 2
	s_add_u32 s33, s22, s6
	s_addc_u32 s56, s23, s7
	s_lshl_b64 s[6:7], s[52:53], 2
	s_add_u32 s6, s33, s6
	s_addc_u32 s7, s56, s7
	v_writelane_b32 v64, s6, 2
	s_nop 1
	v_writelane_b32 v64, s7, 3
	s_nop 1
	global_load_dword v22, v3, s[6:7] offset:-4
	s_waitcnt vmcnt(0)
	v_cmp_gt_i32_e32 vcc, 1, v22
	s_cbranch_vccnz .LBB20_246
; %bb.14:
	s_load_dword s24, s[0:1], 0x0
	s_load_dwordx2 s[40:41], s[0:1], 0x68
	s_mul_i32 s6, s10, s5
	s_mul_hi_u32 s7, s10, s4
	s_add_i32 s0, s7, s6
	s_mul_i32 s1, s11, s4
	s_add_i32 s1, s0, s1
	s_mul_i32 s0, s10, s4
	s_waitcnt lgkmcnt(0)
	s_ashr_i32 s25, s24, 31
	s_lshl_b64 s[0:1], s[0:1], 3
	s_add_u32 s34, s8, s0
	s_addc_u32 s35, s9, s1
	s_mul_i32 s0, s14, s5
	s_mul_hi_u32 s1, s14, s4
	s_add_i32 s0, s1, s0
	s_mul_i32 s1, s15, s4
	s_add_i32 s1, s0, s1
	s_mul_i32 s0, s14, s4
	s_lshl_b64 s[0:1], s[0:1], 3
	s_add_u32 s54, s12, s0
	s_addc_u32 s55, s13, s1
	s_mul_i32 s0, s20, s5
	s_mul_hi_u32 s1, s20, s4
	s_add_i32 s0, s1, s0
	s_mul_i32 s1, s21, s4
	s_add_i32 s1, s0, s1
	s_mul_i32 s0, s20, s4
	;; [unrolled: 9-line block ×3, first 2 shown]
	s_lshl_b64 s[0:1], s[0:1], 2
	s_add_u32 s23, s26, s0
	s_mul_i32 s22, s24, 5
	s_addc_u32 s0, s27, s1
	v_writelane_b32 v64, s0, 4
	s_mul_hi_i32 s1, s22, s4
	s_mul_i32 s0, s22, s4
	s_lshl_b64 s[6:7], s[0:1], 3
	s_add_u32 s20, s44, s6
	s_mul_hi_i32 s9, s24, s4
	s_mul_i32 s8, s24, s4
	s_addc_u32 s21, s45, s7
	s_lshl_b64 s[8:9], s[8:9], 2
	s_add_u32 s66, s46, s8
	s_mul_i32 s5, s36, s5
	s_mul_hi_u32 s10, s36, s4
	s_addc_u32 s67, s47, s9
	s_add_i32 s5, s10, s5
	s_mul_i32 s10, s37, s4
	s_add_i32 s5, s5, s10
	s_mul_i32 s4, s36, s4
	s_ashr_i32 s9, s40, 31
	s_lshl_b64 s[4:5], s[4:5], 3
	s_mov_b32 s8, s40
	s_add_u32 s10, s30, s4
	s_addc_u32 s11, s31, s5
	s_lshl_b64 s[4:5], s[8:9], 3
	s_add_u32 s28, s10, s4
	s_mul_i32 s14, s24, 3
	s_addc_u32 s29, s11, s5
	s_ashr_i32 s15, s14, 31
	s_lshl_b64 s[4:5], s[14:15], 3
	s_add_u32 s36, s20, s4
	s_addc_u32 s37, s21, s5
	s_lshl_b64 s[8:9], s[24:25], 4
	s_sub_u32 s40, 0, s8
	s_subb_u32 s64, 0, s9
	s_add_u32 s46, s36, s40
	s_addc_u32 s47, s37, s64
	s_lshl_b64 s[10:11], s[24:25], 3
	s_add_u32 s60, s46, s10
	s_addc_u32 s61, s47, s11
	s_add_u32 s62, s60, s8
	s_addc_u32 s63, s61, s9
	s_and_b64 s[2:3], s[16:17], s[2:3]
	v_writelane_b32 v64, s2, 5
	v_div_scale_f64 v[6:7], s[12:13], s[50:51], s[50:51], 1.0
	s_nop 0
	v_writelane_b32 v64, s3, 6
	s_add_u32 s2, s54, 8
	v_writelane_b32 v64, s2, 7
	s_addc_u32 s2, s55, 0
	v_writelane_b32 v64, s2, 8
	s_add_u32 s2, s34, 8
	v_writelane_b32 v64, s2, 9
	s_addc_u32 s2, s35, 0
	s_add_u32 s6, s6, s4
	s_addc_u32 s7, s7, s5
	v_writelane_b32 v64, s2, 10
	s_add_u32 s2, s44, s6
	s_addc_u32 s3, s45, s7
	s_lshl_b32 s65, s24, 1
	s_sub_u32 s4, s6, s8
	s_subb_u32 s5, s7, s9
	v_writelane_b32 v64, s4, 11
	s_add_u32 s0, s0, s14
	s_addc_u32 s1, s1, s15
	v_writelane_b32 v64, s5, 12
	s_mov_b32 s4, s14
	v_writelane_b32 v64, s4, 13
	v_rcp_f64_e32 v[8:9], v[6:7]
	v_lshlrev_b32_e32 v2, 3, v0
	v_writelane_b32 v64, s5, 14
	s_add_u32 s4, s0, s24
	s_addc_u32 s5, s1, s25
	s_lshl_b64 s[4:5], s[4:5], 3
	s_lshl_b64 s[0:1], s[0:1], 3
	v_writelane_b32 v64, s4, 15
	s_sub_u32 s0, s0, s10
	v_fma_f64 v[10:11], -v[6:7], v[8:9], 1.0
	v_writelane_b32 v64, s5, 16
	s_subb_u32 s1, s1, s11
	v_fmac_f64_e32 v[8:9], v[8:9], v[10:11]
	v_writelane_b32 v64, s0, 17
	v_fma_f64 v[10:11], -v[6:7], v[8:9], 1.0
	v_fmac_f64_e32 v[8:9], v[8:9], v[10:11]
	v_writelane_b32 v64, s1, 18
	s_add_u32 s0, s6, 8
	v_div_scale_f64 v[10:11], vcc, 1.0, s[50:51], 1.0
	s_addc_u32 s1, s7, 0
	v_mul_f64 v[12:13], v[10:11], v[8:9]
	v_writelane_b32 v64, s0, 19
	v_fma_f64 v[6:7], -v[6:7], v[12:13], v[10:11]
	v_div_fmas_f64 v[6:7], v[6:7], v[8:9], v[12:13]
	v_writelane_b32 v64, s1, 20
	v_add_u32_e32 v12, s24, v0
	s_add_u32 s74, s2, 16
	v_writelane_b32 v64, s34, 21
	v_ashrrev_i32_e32 v13, 31, v12
	s_addc_u32 s75, s3, 0
	v_writelane_b32 v64, s35, 22
	v_max_f64 v[4:5], s[48:49], s[48:49]
	v_add_u32_e32 v1, 8, v2
	v_lshlrev_b32_e32 v46, 2, v0
	s_movk_i32 s12, 0x80
	v_lshl_add_u64 v[12:13], v[12:13], 3, s[20:21]
	s_add_u32 s76, s20, 8
	s_mov_b32 s82, 0xff800000
	v_writelane_b32 v64, s54, 23
	v_max_f64 v[4:5], v[4:5], 0
	v_sub_u32_e32 v47, v1, v46
	v_div_fixup_f64 v[6:7], v[6:7], s[50:51], 1.0
	v_lshl_add_u64 v[8:9], s[20:21], 0, v[2:3]
	v_lshl_add_u64 v[10:11], s[2:3], 0, v[2:3]
	;; [unrolled: 1-line block ×3, first 2 shown]
	s_addc_u32 s77, s21, 0
	v_mov_b32_e32 v48, 0x260
	s_mov_b32 s83, 0x41dfffff
	v_mov_b32_e32 v49, 1
	v_mov_b32_e32 v15, 0x3ff00000
	;; [unrolled: 1-line block ×6, first 2 shown]
	v_cmp_gt_u32_e64 s[2:3], s12, v0
	s_brev_b32 s25, -2
	s_mov_b32 s88, 0
	v_cmp_gt_u32_e64 s[4:5], 64, v0
	v_cmp_gt_i32_e64 s[6:7], s24, v0
	s_mov_b64 s[86:87], 0x800
	s_mov_b32 s90, s39
	v_writelane_b32 v64, s55, 24
                                        ; implicit-def: $vgpr30_vgpr31
                                        ; implicit-def: $vgpr20_vgpr21
                                        ; implicit-def: $vgpr18_vgpr19
                                        ; implicit-def: $vgpr16_vgpr17
                                        ; implicit-def: $sgpr89
	v_writelane_b32 v64, s23, 25
	s_branch .LBB20_17
.LBB20_15:                              ;   in Loop: Header=BB20_17 Depth=1
	v_readlane_b32 s0, v64, 2
	v_readlane_b32 s1, v64, 3
	;; [unrolled: 1-line block ×4, first 2 shown]
	s_mov_b32 s88, s11
	v_readlane_b32 s35, v64, 22
	v_readlane_b32 s55, v64, 24
	global_load_dword v22, v3, s[0:1] offset:-4
	v_readlane_b32 s23, v64, 25
.LBB20_16:                              ;   in Loop: Header=BB20_17 Depth=1
	s_add_i32 s90, s90, 1
	s_waitcnt vmcnt(0)
	v_cmp_ge_i32_e32 vcc, s90, v22
	s_cbranch_vccnz .LBB20_246
.LBB20_17:                              ; =>This Loop Header: Depth=1
                                        ;     Child Loop BB20_22 Depth 2
                                        ;     Child Loop BB20_27 Depth 2
                                        ;       Child Loop BB20_37 Depth 3
                                        ;       Child Loop BB20_40 Depth 3
	;; [unrolled: 1-line block ×5, first 2 shown]
                                        ;         Child Loop BB20_109 Depth 4
                                        ;         Child Loop BB20_112 Depth 4
	;; [unrolled: 1-line block ×4, first 2 shown]
                                        ;           Child Loop BB20_128 Depth 5
                                        ;         Child Loop BB20_142 Depth 4
                                        ;           Child Loop BB20_143 Depth 5
                                        ;           Child Loop BB20_145 Depth 5
                                        ;         Child Loop BB20_150 Depth 4
                                        ;       Child Loop BB20_191 Depth 3
                                        ;       Child Loop BB20_228 Depth 3
	;; [unrolled: 1-line block ×4, first 2 shown]
	s_mov_b32 s92, 0
	s_cmp_eq_u32 s90, 0
	s_mov_b64 s[0:1], 0
	v_readlane_b32 s8, v64, 4
	s_cbranch_scc1 .LBB20_19
; %bb.18:                               ;   in Loop: Header=BB20_17 Depth=1
	s_mov_b32 s91, s39
	s_lshl_b64 s[0:1], s[90:91], 2
	s_add_u32 s0, s23, s0
	s_addc_u32 s1, s8, s1
	global_load_dword v2, v3, s[0:1] offset:-4
	s_mov_b64 s[0:1], s[90:91]
	s_waitcnt vmcnt(0)
	v_readfirstlane_b32 s92, v2
.LBB20_19:                              ;   in Loop: Header=BB20_17 Depth=1
	s_lshl_b64 s[0:1], s[0:1], 2
	s_add_u32 s0, s23, s0
	s_addc_u32 s1, s8, s1
	global_load_dword v2, v3, s[0:1]
	s_not_b32 s0, s92
	s_waitcnt vmcnt(0)
	v_readfirstlane_b32 s94, v2
	s_add_i32 s96, s0, s94
	s_cmp_lt_i32 s96, 1
	s_cselect_b64 s[98:99], -1, 0
	v_subrev_u32_e32 v51, s92, v2
	s_and_b64 vcc, exec, s[98:99]
	s_cbranch_vccnz .LBB20_24
; %bb.20:                               ;   in Loop: Header=BB20_17 Depth=1
	s_ashr_i32 s93, s92, 31
	s_lshl_b64 s[8:9], s[92:93], 3
	s_add_u32 s0, s34, s8
	s_addc_u32 s1, s35, s9
	s_add_u32 s12, s54, s8
	s_addc_u32 s13, s55, s9
	s_ashr_i32 s95, s94, 31
	s_lshl_b64 s[14:15], s[94:95], 3
	s_add_u32 s18, s34, s14
	s_addc_u32 s19, s35, s15
	s_add_i32 s10, s94, -2
	s_add_u32 s14, s54, s14
	s_addc_u32 s15, s55, s15
	global_load_dwordx2 v[16:17], v3, s[0:1]
	global_load_dwordx2 v[18:19], v3, s[12:13]
	global_load_dwordx2 v[20:21], v3, s[18:19] offset:-8
	global_load_dwordx2 v[24:25], v3, s[14:15] offset:-16
	s_cmp_ge_i32 s92, s10
	s_waitcnt vmcnt(2)
	v_add_f64 v[16:17], |v[16:17]|, |v[18:19]|
	s_waitcnt vmcnt(0)
	v_add_f64 v[20:21], |v[20:21]|, |v[24:25]|
	v_cmp_lt_f64_e32 vcc, v[16:17], v[20:21]
	s_nop 1
	v_cndmask_b32_e32 v17, v17, v21, vcc
	v_cndmask_b32_e32 v16, v16, v20, vcc
	s_cbranch_scc1 .LBB20_23
; %bb.21:                               ;   in Loop: Header=BB20_17 Depth=1
	v_readlane_b32 s0, v64, 7
	s_add_u32 s0, s0, s8
	v_readlane_b32 s1, v64, 8
	s_addc_u32 s1, s1, s9
	v_readlane_b32 s11, v64, 9
	s_add_u32 s8, s11, s8
	v_readlane_b32 s11, v64, 10
	s_addc_u32 s9, s11, s9
	s_mov_b32 s11, s92
.LBB20_22:                              ;   Parent Loop BB20_17 Depth=1
                                        ; =>  This Inner Loop Header: Depth=2
	global_load_dwordx2 v[20:21], v3, s[8:9]
	s_add_i32 s11, s11, 1
	s_waitcnt vmcnt(0)
	v_add_f64 v[20:21], |v[18:19]|, |v[20:21]|
	global_load_dwordx2 v[18:19], v3, s[0:1]
	s_add_u32 s0, s0, 8
	s_addc_u32 s1, s1, 0
	s_add_u32 s8, s8, 8
	s_addc_u32 s9, s9, 0
	s_cmp_lt_i32 s11, s10
	s_waitcnt vmcnt(0)
	v_add_f64 v[20:21], v[20:21], |v[18:19]|
	v_cmp_lt_f64_e32 vcc, v[16:17], v[20:21]
	s_nop 1
	v_cndmask_b32_e32 v17, v17, v21, vcc
	v_cndmask_b32_e32 v16, v16, v20, vcc
	s_cbranch_scc1 .LBB20_22
.LBB20_23:                              ;   in Loop: Header=BB20_17 Depth=1
	s_mov_b32 s8, 0x9999999a
	v_cvt_f64_u32_e32 v[18:19], v51
	s_mov_b32 s9, 0x3fb99999
	v_div_scale_f64 v[20:21], s[0:1], v[18:19], v[18:19], s[8:9]
	v_rcp_f64_e32 v[24:25], v[20:21]
	v_div_scale_f64 v[26:27], vcc, s[8:9], v[18:19], s[8:9]
	s_mov_b32 s0, 0
	v_fma_f64 v[28:29], -v[20:21], v[24:25], 1.0
	v_fmac_f64_e32 v[24:25], v[24:25], v[28:29]
	v_fma_f64 v[28:29], -v[20:21], v[24:25], 1.0
	v_fmac_f64_e32 v[24:25], v[24:25], v[28:29]
	v_mul_f64 v[28:29], v[26:27], v[24:25]
	v_fma_f64 v[20:21], -v[20:21], v[28:29], v[26:27]
	v_div_fmas_f64 v[20:21], v[20:21], v[24:25], v[28:29]
	v_div_fixup_f64 v[18:19], v[20:21], v[18:19], s[8:9]
	s_brev_b32 s1, 8
	v_cmp_gt_f64_e32 vcc, s[0:1], v[18:19]
	s_and_b64 s[0:1], vcc, exec
	s_cselect_b32 s0, 0x100, 0
	v_ldexp_f64 v[20:21], v[18:19], s0
	v_rsq_f64_e32 v[24:25], v[20:21]
	s_mov_b32 s0, 0xd2f1a9fc
	s_mov_b32 s1, 0x3f50624d
	v_mul_f64 v[18:19], v[16:17], s[0:1]
	v_mul_f64 v[26:27], v[20:21], v[24:25]
	v_mul_f64 v[24:25], v[24:25], 0.5
	v_fma_f64 v[28:29], -v[24:25], v[26:27], 0.5
	v_fmac_f64_e32 v[26:27], v[26:27], v[28:29]
	v_fma_f64 v[32:33], -v[26:27], v[26:27], v[20:21]
	v_fmac_f64_e32 v[24:25], v[24:25], v[28:29]
	v_fmac_f64_e32 v[26:27], v[32:33], v[24:25]
	v_fma_f64 v[28:29], -v[26:27], v[26:27], v[20:21]
	v_fmac_f64_e32 v[26:27], v[28:29], v[24:25]
	s_cselect_b32 s0, 0xffffff80, 0
	v_ldexp_f64 v[24:25], v[26:27], s0
	v_cmp_class_f64_e32 vcc, v[20:21], v48
	s_mov_b32 s89, s88
	s_nop 0
	v_cndmask_b32_e32 v21, v25, v21, vcc
	v_cndmask_b32_e32 v20, v24, v20, vcc
.LBB20_24:                              ;   in Loop: Header=BB20_17 Depth=1
	s_cmp_ge_i32 s88, s52
	s_cbranch_scc1 .LBB20_16
; %bb.25:                               ;   in Loop: Header=BB20_17 Depth=1
	v_cmp_gt_i32_e64 s[0:1], s96, v0
	s_ashr_i32 s95, s94, 31
	s_mov_b32 s97, s39
	v_writelane_b32 v64, s0, 26
	v_add_u32_e32 v24, s92, v0
	v_ashrrev_i32_e32 v25, 31, v24
	v_writelane_b32 v64, s1, 27
	s_lshl_b64 s[0:1], s[94:95], 3
	s_add_u32 s0, s34, s0
	s_addc_u32 s1, s35, s1
	v_writelane_b32 v64, s0, 28
	v_cvt_f64_u32_e32 v[22:23], v51
	v_lshlrev_b64 v[26:27], 3, v[24:25]
	v_writelane_b32 v64, s1, 29
	v_cmp_ge_i32_e64 s[8:9], s96, v0
	v_readlane_b32 s0, v64, 13
	v_readlane_b32 s1, v64, 14
	s_add_i32 s0, s96, s0
	s_ashr_i32 s1, s0, 31
	s_lshl_b64 s[0:1], s[0:1], 3
	s_add_u32 s78, s20, s0
	s_addc_u32 s79, s21, s1
	s_lshl_b64 s[0:1], s[96:97], 2
	s_add_u32 s22, s66, s0
	s_addc_u32 s23, s67, s1
	s_add_i32 s91, s96, -1
	s_lshl_b64 s[0:1], s[96:97], 3
	s_add_u32 s0, s36, s0
	s_addc_u32 s1, s37, s1
	v_writelane_b32 v64, s0, 30
	v_mul_f64 v[22:23], v[16:17], v[22:23]
	v_cmp_lt_u32_e64 s[12:13], 2, v51
	v_writelane_b32 v64, s1, 31
	v_cmp_lt_u32_e64 s[0:1], v0, v51
	v_lshl_add_u64 v[24:25], s[34:35], 0, v[26:27]
	v_lshl_add_u64 v[26:27], s[54:55], 0, v[26:27]
	v_writelane_b32 v64, s0, 32
	s_sub_i32 s93, s94, s92
	s_mov_b32 s97, 0
	s_sub_i32 s95, 0, s92
	s_mul_i32 s10, s41, s88
	s_mov_b32 s80, s88
	v_writelane_b32 v64, s1, 33
	s_branch .LBB20_27
.LBB20_26:                              ;   in Loop: Header=BB20_27 Depth=2
	s_or_b64 exec, exec, s[18:19]
	s_add_i32 s97, s97, 1
	s_add_i32 s80, s80, 1
	s_add_i32 s10, s10, s41
	s_cmp_ge_i32 s80, s52
	s_barrier
	s_cselect_b64 s[0:1], -1, 0
	s_mov_b32 s11, s88
	s_and_b64 vcc, exec, s[0:1]
	s_cbranch_vccnz .LBB20_15
.LBB20_27:                              ;   Parent Loop BB20_17 Depth=1
                                        ; =>  This Loop Header: Depth=2
                                        ;       Child Loop BB20_37 Depth 3
                                        ;       Child Loop BB20_40 Depth 3
	;; [unrolled: 1-line block ×5, first 2 shown]
                                        ;         Child Loop BB20_109 Depth 4
                                        ;         Child Loop BB20_112 Depth 4
	;; [unrolled: 1-line block ×4, first 2 shown]
                                        ;           Child Loop BB20_128 Depth 5
                                        ;         Child Loop BB20_142 Depth 4
                                        ;           Child Loop BB20_143 Depth 5
                                        ;           Child Loop BB20_145 Depth 5
                                        ;         Child Loop BB20_150 Depth 4
                                        ;       Child Loop BB20_191 Depth 3
                                        ;       Child Loop BB20_228 Depth 3
	;; [unrolled: 1-line block ×4, first 2 shown]
	s_ashr_i32 s81, s80, 31
	s_lshl_b64 s[0:1], s[80:81], 2
	s_add_u32 s0, s33, s0
	s_addc_u32 s1, s56, s1
	global_load_dword v2, v3, s[0:1]
	s_mov_b64 s[0:1], -1
	s_waitcnt vmcnt(0)
	v_add_u32_e32 v2, -1, v2
	v_cmp_ne_u32_e32 vcc, s90, v2
	s_cbranch_vccnz .LBB20_31
; %bb.28:                               ;   in Loop: Header=BB20_27 Depth=2
	s_lshl_b64 s[0:1], s[80:81], 3
	s_add_u32 s0, s53, s0
	s_addc_u32 s1, s57, s1
	global_load_dwordx2 v[28:29], v3, s[0:1]
	s_mov_b64 s[0:1], -1
	s_and_b64 vcc, exec, s[98:99]
	s_cbranch_vccnz .LBB20_32
; %bb.29:                               ;   in Loop: Header=BB20_27 Depth=2
	s_and_b64 vcc, exec, s[0:1]
	s_cbranch_vccnz .LBB20_35
.LBB20_30:                              ;   in Loop: Header=BB20_27 Depth=2
	s_waitcnt vmcnt(0)
	v_mov_b64_e32 v[30:31], v[28:29]
	s_and_saveexec_b64 s[18:19], s[6:7]
	s_cbranch_execz .LBB20_26
	s_branch .LBB20_242
.LBB20_31:                              ;   in Loop: Header=BB20_27 Depth=2
	s_mov_b32 s11, s80
                                        ; implicit-def: $sgpr97
                                        ; implicit-def: $sgpr10
	s_and_b64 vcc, exec, s[0:1]
	s_cbranch_vccz .LBB20_27
	s_branch .LBB20_15
.LBB20_32:                              ;   in Loop: Header=BB20_27 Depth=2
	s_and_saveexec_b64 s[0:1], s[16:17]
	s_cbranch_execz .LBB20_34
; %bb.33:                               ;   in Loop: Header=BB20_27 Depth=2
	global_store_dwordx2 v3, v[14:15], s[20:21]
.LBB20_34:                              ;   in Loop: Header=BB20_27 Depth=2
	s_or_b64 exec, exec, s[0:1]
	s_barrier
	s_branch .LBB20_30
.LBB20_35:                              ;   in Loop: Header=BB20_27 Depth=2
	s_and_saveexec_b64 s[0:1], s[8:9]
	s_cbranch_execz .LBB20_38
; %bb.36:                               ;   in Loop: Header=BB20_27 Depth=2
	s_mul_i32 s11, s90, s52
	s_add_i32 s11, s80, s11
	v_lshl_or_b32 v32, s11, 8, v0
	v_sub_u32_e32 v2, 0x7ffffffe, v32
	v_sub_u32_e32 v33, 0xf7, v32
	s_mov_b32 s11, 0x7fffff07
	v_max_u32_e32 v33, 1, v33
	v_cmp_gt_u32_e32 vcc, s11, v2
	s_mov_b32 s11, 0x7ffffffe
	s_mov_b64 s[18:19], 0
	v_cndmask_b32_e32 v2, v33, v2, vcc
	v_cmp_ne_u32_e32 vcc, s11, v32
	v_add_u32_e32 v32, 1, v32
	s_mov_b32 s11, 0x40000001
	v_mul_hi_i32 v33, v32, s11
	v_lshrrev_b32_e32 v34, 31, v33
	v_ashrrev_i32_e32 v33, 29, v33
	v_add_u32_e32 v33, v33, v34
	v_mul_lo_u32 v33, v33, s25
	v_sub_u32_e32 v32, v32, v33
	v_cndmask_b32_e32 v2, 1, v2, vcc
	v_max_i32_e32 v35, 1, v32
	v_mov_b64_e32 v[32:33], v[8:9]
	v_mov_b32_e32 v34, v0
.LBB20_37:                              ;   Parent Loop BB20_17 Depth=1
                                        ;     Parent Loop BB20_27 Depth=2
                                        ; =>    This Inner Loop Header: Depth=3
	s_mov_b32 s11, 0x5e4789c9
	s_mov_b32 s26, 0x4f7a09cd
	v_mul_hi_i32 v36, v35, s11
	v_mul_hi_i32 v37, v2, s26
	v_lshrrev_b32_e32 v38, 31, v36
	v_ashrrev_i32_e32 v36, 14, v36
	v_lshrrev_b32_e32 v39, 31, v37
	v_ashrrev_i32_e32 v37, 14, v37
	v_add_u32_e32 v36, v36, v38
	v_add_u32_e32 v37, v37, v39
	v_mul_i32_i24_e32 v38, 0xadc8, v36
	v_mul_i32_i24_e32 v39, 0xce26, v37
	s_mov_b32 s27, 0xbc8f
	s_mov_b32 s30, 0x9ef4
	v_sub_u32_e32 v35, v35, v38
	v_sub_u32_e32 v2, v2, v39
	s_movk_i32 s31, 0xf2b9
	s_movk_i32 s34, 0xf131
	v_mul_lo_u32 v35, v35, s27
	v_mul_lo_u32 v2, v2, s30
	v_mad_i32_i24 v35, v36, s31, v35
	v_mad_i32_i24 v2, v37, s34, v2
	v_ashrrev_i32_e32 v36, 31, v35
	v_ashrrev_i32_e32 v37, 31, v2
	v_and_b32_e32 v36, 0x7fffffff, v36
	v_and_b32_e32 v37, 0x7fffff07, v37
	v_add_u32_e32 v35, v36, v35
	v_add_u32_e32 v2, v37, v2
	v_sub_u32_e32 v36, v35, v2
	v_ashrrev_i32_e32 v37, 31, v36
	v_and_b32_e32 v37, 0x7fffffff, v37
	v_add_u32_e32 v36, v37, v36
	v_cvt_f64_i32_e32 v[36:37], v36
	v_div_scale_f64 v[38:39], s[26:27], s[82:83], s[82:83], v[36:37]
	v_rcp_f64_e32 v[40:41], v[38:39]
	v_add_u32_e32 v34, 0x100, v34
	v_cmp_lt_i32_e32 vcc, s96, v34
	s_or_b64 s[18:19], vcc, s[18:19]
	v_fma_f64 v[44:45], -v[38:39], v[40:41], 1.0
	v_fmac_f64_e32 v[40:41], v[40:41], v[44:45]
	v_fma_f64 v[44:45], -v[38:39], v[40:41], 1.0
	v_div_scale_f64 v[42:43], vcc, v[36:37], s[82:83], v[36:37]
	v_fmac_f64_e32 v[40:41], v[40:41], v[44:45]
	v_mul_f64 v[44:45], v[42:43], v[40:41]
	v_fma_f64 v[38:39], -v[38:39], v[44:45], v[42:43]
	s_nop 0
	v_div_fmas_f64 v[38:39], v[38:39], v[40:41], v[44:45]
	v_div_fixup_f64 v[36:37], v[38:39], s[82:83], v[36:37]
	global_store_dwordx2 v[32:33], v[36:37], off
	v_lshl_add_u64 v[32:33], v[32:33], 0, s[86:87]
	s_andn2_b64 exec, exec, s[18:19]
	s_cbranch_execnz .LBB20_37
.LBB20_38:                              ;   in Loop: Header=BB20_27 Depth=2
	s_or_b64 exec, exec, s[0:1]
	v_readlane_b32 s14, v64, 26
	v_readlane_b32 s15, v64, 27
	s_and_saveexec_b64 s[0:1], s[14:15]
	s_cbranch_execz .LBB20_41
; %bb.39:                               ;   in Loop: Header=BB20_27 Depth=2
	s_mov_b64 s[18:19], 0
	v_mov_b64_e32 v[32:33], v[26:27]
	v_mov_b64_e32 v[34:35], v[24:25]
	;; [unrolled: 1-line block ×4, first 2 shown]
	v_mov_b32_e32 v2, v0
.LBB20_40:                              ;   Parent Loop BB20_17 Depth=1
                                        ;     Parent Loop BB20_27 Depth=2
                                        ; =>    This Inner Loop Header: Depth=3
	global_load_dwordx2 v[40:41], v[34:35], off
	v_add_u32_e32 v42, s65, v2
	v_add_u32_e32 v2, 0x100, v2
	v_ashrrev_i32_e32 v43, 31, v42
	v_cmp_le_i32_e32 vcc, s96, v2
	v_lshl_add_u64 v[42:43], v[42:43], 3, s[20:21]
	v_lshl_add_u64 v[34:35], v[34:35], 0, s[86:87]
	s_or_b64 s[18:19], vcc, s[18:19]
	s_waitcnt vmcnt(0)
	global_store_dwordx2 v[38:39], v[40:41], off
	global_load_dwordx2 v[40:41], v[32:33], off
	v_lshl_add_u64 v[38:39], v[38:39], 0, s[86:87]
	v_lshl_add_u64 v[32:33], v[32:33], 0, s[86:87]
	s_waitcnt vmcnt(0)
	global_store_dwordx2 v[42:43], v[40:41], off
	global_store_dwordx2 v[36:37], v[40:41], off
	v_lshl_add_u64 v[36:37], v[36:37], 0, s[86:87]
	s_andn2_b64 exec, exec, s[18:19]
	s_cbranch_execnz .LBB20_40
.LBB20_41:                              ;   in Loop: Header=BB20_27 Depth=2
	s_or_b64 exec, exec, s[0:1]
	s_and_saveexec_b64 s[0:1], s[16:17]
	s_cbranch_execz .LBB20_43
; %bb.42:                               ;   in Loop: Header=BB20_27 Depth=2
	v_readlane_b32 s14, v64, 28
	v_readlane_b32 s15, v64, 29
	s_nop 4
	global_load_dwordx2 v[32:33], v3, s[14:15] offset:-8
	s_waitcnt vmcnt(0)
	global_store_dwordx2 v3, v[32:33], s[78:79]
.LBB20_43:                              ;   in Loop: Header=BB20_27 Depth=2
	s_or_b64 exec, exec, s[0:1]
	s_mov_b32 s0, 0
	s_waitcnt vmcnt(0)
	v_mul_f64 v[32:33], s[48:49], v[28:29]
	s_mov_b32 s1, 0x40240000
	s_cmp_lg_u32 s97, 0
	v_mul_f64 v[34:35], |v[32:33]|, s[0:1]
	v_add_f64 v[36:37], v[28:29], -v[30:31]
	s_cselect_b64 s[84:85], -1, 0
	v_fma_f64 v[32:33], |v[32:33]|, s[0:1], v[30:31]
	v_cmp_lt_f64_e32 vcc, v[36:37], v[34:35]
	s_cmp_eq_u32 s97, 0
	s_nop 0
	v_cndmask_b32_e32 v2, v28, v32, vcc
	v_cndmask_b32_e32 v32, v29, v33, vcc
	s_cselect_b64 vcc, -1, 0
	v_cndmask_b32_e32 v29, v32, v29, vcc
	v_cndmask_b32_e32 v28, v2, v28, vcc
	s_barrier
	s_and_saveexec_b64 s[0:1], s[16:17]
	s_cbranch_execz .LBB20_70
; %bb.44:                               ;   in Loop: Header=BB20_27 Depth=2
	global_load_dwordx2 v[32:33], v3, s[36:37]
	s_mov_b64 s[14:15], s[72:73]
	v_readlane_b32 s18, v64, 19
	v_readlane_b32 s68, v64, 17
	;; [unrolled: 1-line block ×4, first 2 shown]
	s_mov_b32 s11, 1
	v_readlane_b32 s19, v64, 20
	v_readlane_b32 s69, v64, 18
	s_mov_b64 s[26:27], s[66:67]
	v_readlane_b32 s71, v64, 16
	v_readlane_b32 s73, v64, 12
	global_store_dword v3, v3, s[22:23]
	s_waitcnt vmcnt(1)
	v_add_f64 v[32:33], v[32:33], -v[28:29]
	global_store_dwordx2 v3, v[32:33], s[36:37]
	global_load_dwordx2 v[34:35], v3, s[46:47] offset:8
	s_waitcnt vmcnt(0)
	v_add_f64 v[32:33], |v[32:33]|, |v[34:35]|
	s_branch .LBB20_46
.LBB20_45:                              ;   in Loop: Header=BB20_46 Depth=3
	s_add_u32 s72, s72, 8
	s_addc_u32 s73, s73, 0
	s_add_u32 s70, s70, 8
	s_addc_u32 s71, s71, 0
	;; [unrolled: 2-line block ×4, first 2 shown]
	s_add_i32 s11, s11, 1
	s_add_u32 s18, s18, 8
	s_addc_u32 s19, s19, 0
	s_cmp_eq_u32 s93, s11
	s_cbranch_scc1 .LBB20_67
.LBB20_46:                              ;   Parent Loop BB20_17 Depth=1
                                        ;     Parent Loop BB20_27 Depth=2
                                        ; =>    This Inner Loop Header: Depth=3
	s_add_i32 s30, s11, -1
	s_add_u32 s34, s44, s18
	s_addc_u32 s35, s45, s19
	global_load_dwordx2 v[34:35], v3, s[34:35]
	s_add_u32 s58, s44, s68
	s_addc_u32 s59, s45, s69
	s_cmp_lt_u32 s30, s91
	s_cselect_b64 s[54:55], -1, 0
	s_cmp_ge_u32 s30, s91
	s_waitcnt vmcnt(0)
	v_add_f64 v[38:39], v[34:35], -v[28:29]
	global_store_dwordx2 v3, v[38:39], s[34:35]
	global_load_dwordx2 v[40:41], v3, s[58:59]
	s_waitcnt vmcnt(0)
	v_add_f64 v[34:35], |v[38:39]|, |v[40:41]|
	s_cbranch_scc1 .LBB20_48
; %bb.47:                               ;   in Loop: Header=BB20_46 Depth=3
	s_add_u32 s30, s44, s72
	s_addc_u32 s31, s45, s73
	global_load_dwordx2 v[36:37], v3, s[30:31] offset:16
	s_waitcnt vmcnt(0)
	v_add_f64 v[34:35], v[34:35], |v[36:37]|
.LBB20_48:                              ;   in Loop: Header=BB20_46 Depth=3
	global_load_dwordx2 v[42:43], v3, s[34:35] offset:-8
	s_waitcnt vmcnt(0)
	v_cmp_eq_f64_e32 vcc, 0, v[42:43]
	s_cbranch_vccnz .LBB20_59
; %bb.49:                               ;   in Loop: Header=BB20_46 Depth=3
	v_and_b32_e32 v37, 0x7fffffff, v43
	v_mov_b32_e32 v36, v42
	v_div_scale_f64 v[44:45], s[30:31], v[32:33], v[32:33], v[36:37]
	v_rcp_f64_e32 v[54:55], v[44:45]
	v_div_scale_f64 v[36:37], vcc, v[36:37], v[32:33], v[36:37]
	v_fma_f64 v[56:57], -v[44:45], v[54:55], 1.0
	v_fmac_f64_e32 v[54:55], v[54:55], v[56:57]
	v_fma_f64 v[56:57], -v[44:45], v[54:55], 1.0
	v_fmac_f64_e32 v[54:55], v[54:55], v[56:57]
	v_mul_f64 v[56:57], v[36:37], v[54:55]
	v_fma_f64 v[36:37], -v[44:45], v[56:57], v[36:37]
	v_div_fmas_f64 v[36:37], v[36:37], v[54:55], v[56:57]
	v_div_fixup_f64 v[36:37], v[36:37], v[32:33], |v[42:43]|
	v_cmp_neq_f64_e32 vcc, 0, v[40:41]
	s_cbranch_vccz .LBB20_60
.LBB20_50:                              ;   in Loop: Header=BB20_46 Depth=3
	v_and_b32_e32 v45, 0x7fffffff, v41
	v_mov_b32_e32 v44, v40
	v_div_scale_f64 v[54:55], s[30:31], v[34:35], v[34:35], v[44:45]
	v_rcp_f64_e32 v[56:57], v[54:55]
	v_div_scale_f64 v[44:45], vcc, v[44:45], v[34:35], v[44:45]
	s_mov_b64 s[30:31], -1
	v_fma_f64 v[58:59], -v[54:55], v[56:57], 1.0
	v_fmac_f64_e32 v[56:57], v[56:57], v[58:59]
	v_fma_f64 v[58:59], -v[54:55], v[56:57], 1.0
	v_fmac_f64_e32 v[56:57], v[56:57], v[58:59]
	v_mul_f64 v[58:59], v[44:45], v[56:57]
	v_fma_f64 v[44:45], -v[54:55], v[58:59], v[44:45]
	v_div_fmas_f64 v[44:45], v[44:45], v[56:57], v[58:59]
	v_div_fixup_f64 v[44:45], v[44:45], v[34:35], |v[40:41]|
	v_cmp_nle_f64_e32 vcc, v[44:45], v[36:37]
	s_cbranch_vccnz .LBB20_54
; %bb.51:                               ;   in Loop: Header=BB20_46 Depth=3
	v_div_scale_f64 v[54:55], s[30:31], v[42:43], v[42:43], v[40:41]
	v_rcp_f64_e32 v[56:57], v[54:55]
	v_div_scale_f64 v[58:59], vcc, v[40:41], v[42:43], v[40:41]
	s_add_u32 s30, s44, s72
	v_fma_f64 v[60:61], -v[54:55], v[56:57], 1.0
	v_fmac_f64_e32 v[56:57], v[56:57], v[60:61]
	v_fma_f64 v[60:61], -v[54:55], v[56:57], 1.0
	v_fmac_f64_e32 v[56:57], v[56:57], v[60:61]
	v_mul_f64 v[60:61], v[58:59], v[56:57]
	v_fma_f64 v[54:55], -v[54:55], v[60:61], v[58:59]
	v_div_fmas_f64 v[54:55], v[54:55], v[56:57], v[60:61]
	v_div_fixup_f64 v[54:55], v[54:55], v[42:43], v[40:41]
	global_store_dwordx2 v3, v[54:55], s[58:59]
	s_addc_u32 s31, s45, s73
	global_load_dwordx2 v[56:57], v3, s[34:35]
	global_load_dwordx2 v[58:59], v3, s[30:31] offset:8
	s_andn2_b64 vcc, exec, s[54:55]
	global_store_dword v3, v3, s[26:27]
	s_waitcnt vmcnt(1)
	v_fma_f64 v[54:55], -v[54:55], v[58:59], v[56:57]
	global_store_dwordx2 v3, v[54:55], s[34:35]
	s_cbranch_vccnz .LBB20_53
; %bb.52:                               ;   in Loop: Header=BB20_46 Depth=3
	s_add_u32 s30, s44, s70
	s_addc_u32 s31, s45, s71
	global_store_dwordx2 v3, v[52:53], s[30:31]
.LBB20_53:                              ;   in Loop: Header=BB20_46 Depth=3
	s_mov_b64 s[30:31], 0
.LBB20_54:                              ;   in Loop: Header=BB20_46 Depth=3
	s_andn2_b64 vcc, exec, s[30:31]
	v_mov_b64_e32 v[54:55], v[34:35]
	s_cbranch_vccnz .LBB20_58
; %bb.55:                               ;   in Loop: Header=BB20_46 Depth=3
	s_add_u32 s30, s44, s72
	global_store_dwordx2 v3, v[40:41], s[34:35] offset:-8
	s_addc_u32 s31, s45, s73
	global_load_dwordx2 v[54:55], v3, s[30:31] offset:8
	v_div_scale_f64 v[56:57], vcc, v[40:41], v[40:41], v[42:43]
	v_rcp_f64_e32 v[58:59], v[56:57]
	v_div_scale_f64 v[60:61], vcc, v[42:43], v[40:41], v[42:43]
	global_store_dword v3, v49, s[26:27]
	v_fma_f64 v[62:63], -v[56:57], v[58:59], 1.0
	v_fmac_f64_e32 v[58:59], v[58:59], v[62:63]
	v_fma_f64 v[62:63], -v[56:57], v[58:59], 1.0
	v_fmac_f64_e32 v[58:59], v[58:59], v[62:63]
	v_mul_f64 v[62:63], v[60:61], v[58:59]
	v_fma_f64 v[56:57], -v[56:57], v[62:63], v[60:61]
	v_div_fmas_f64 v[56:57], v[56:57], v[58:59], v[62:63]
	v_div_fixup_f64 v[40:41], v[56:57], v[40:41], v[42:43]
	s_andn2_b64 vcc, exec, s[54:55]
	s_waitcnt vmcnt(1)
	v_fma_f64 v[42:43], -v[38:39], v[40:41], v[54:55]
	global_store_dwordx2 v3, v[42:43], s[34:35]
	s_cbranch_vccnz .LBB20_57
; %bb.56:                               ;   in Loop: Header=BB20_46 Depth=3
	global_load_dwordx2 v[42:43], v3, s[30:31] offset:16
	s_add_u32 s34, s44, s70
	s_addc_u32 s35, s45, s71
	s_waitcnt vmcnt(0)
	global_store_dwordx2 v3, v[42:43], s[34:35]
	v_mul_f64 v[42:43], v[42:43], -v[40:41]
	global_store_dwordx2 v3, v[42:43], s[30:31] offset:16
.LBB20_57:                              ;   in Loop: Header=BB20_46 Depth=3
	v_mov_b64_e32 v[54:55], v[32:33]
	global_store_dwordx2 v3, v[38:39], s[30:31] offset:8
	global_store_dwordx2 v3, v[40:41], s[58:59]
.LBB20_58:                              ;   in Loop: Header=BB20_46 Depth=3
	v_mov_b64_e32 v[32:33], v[54:55]
	s_cbranch_execz .LBB20_61
	s_branch .LBB20_64
.LBB20_59:                              ;   in Loop: Header=BB20_46 Depth=3
	v_mov_b64_e32 v[36:37], 0
	v_cmp_neq_f64_e32 vcc, 0, v[40:41]
	s_cbranch_vccnz .LBB20_50
.LBB20_60:                              ;   in Loop: Header=BB20_46 Depth=3
                                        ; implicit-def: $vgpr44_vgpr45
                                        ; implicit-def: $vgpr32_vgpr33
.LBB20_61:                              ;   in Loop: Header=BB20_46 Depth=3
	s_andn2_b64 vcc, exec, s[54:55]
	global_store_dword v3, v3, s[26:27]
	s_cbranch_vccnz .LBB20_63
; %bb.62:                               ;   in Loop: Header=BB20_46 Depth=3
	s_add_u32 s30, s44, s70
	s_addc_u32 s31, s45, s71
	global_store_dwordx2 v3, v[52:53], s[30:31]
.LBB20_63:                              ;   in Loop: Header=BB20_46 Depth=3
	v_mov_b64_e32 v[44:45], 0
	v_mov_b64_e32 v[32:33], v[34:35]
.LBB20_64:                              ;   in Loop: Header=BB20_46 Depth=3
	v_max_f64 v[34:35], v[44:45], v[44:45]
	v_max_f64 v[36:37], v[36:37], v[36:37]
	;; [unrolled: 1-line block ×3, first 2 shown]
	v_cmp_nle_f64_e32 vcc, v[34:35], v[4:5]
	s_cbranch_vccnz .LBB20_45
; %bb.65:                               ;   in Loop: Header=BB20_46 Depth=3
	global_load_dword v2, v3, s[22:23]
	s_waitcnt vmcnt(0)
	v_cmp_ne_u32_e32 vcc, 0, v2
	s_cbranch_vccnz .LBB20_45
; %bb.66:                               ;   in Loop: Header=BB20_46 Depth=3
	v_mov_b32_e32 v2, s11
	global_store_dword v3, v2, s[22:23]
	s_branch .LBB20_45
.LBB20_67:                              ;   in Loop: Header=BB20_27 Depth=2
	v_readlane_b32 s18, v64, 30
	v_readlane_b32 s19, v64, 31
	v_mul_f64 v[32:33], v[4:5], v[32:33]
	s_mov_b64 s[72:73], s[14:15]
	s_nop 2
	global_load_dwordx2 v[34:35], v3, s[18:19]
	s_waitcnt vmcnt(0)
	v_cmp_le_f64_e64 s[18:19], |v[34:35]|, v[32:33]
	s_and_b64 vcc, exec, s[18:19]
	s_cbranch_vccz .LBB20_70
; %bb.68:                               ;   in Loop: Header=BB20_27 Depth=2
	global_load_dword v2, v3, s[22:23]
	s_waitcnt vmcnt(0)
	v_cmp_ne_u32_e32 vcc, 0, v2
	s_cbranch_vccnz .LBB20_70
; %bb.69:                               ;   in Loop: Header=BB20_27 Depth=2
	global_store_dword v3, v51, s[22:23]
.LBB20_70:                              ;   in Loop: Header=BB20_27 Depth=2
	s_or_b64 exec, exec, s[0:1]
	v_add_f64 v[30:31], v[28:29], -v[30:31]
	v_cmp_gt_f64_e64 s[68:69], |v[30:31]|, v[18:19]
	s_mov_b32 s11, 0
	s_mov_b32 s54, 0
	v_mov_b64_e32 v[30:31], 0
	v_bfrev_b32_e32 v2, -2
	s_and_saveexec_b64 s[18:19], s[8:9]
	s_cbranch_execz .LBB20_74
.LBB20_71:                              ;   in Loop: Header=BB20_27 Depth=2
	v_mov_b64_e32 v[30:31], 0
	v_bfrev_b32_e32 v2, -2
	s_mov_b64 s[26:27], 0
	v_mov_b64_e32 v[32:33], v[8:9]
	v_mov_b32_e32 v34, v0
.LBB20_72:                              ;   Parent Loop BB20_17 Depth=1
                                        ;     Parent Loop BB20_27 Depth=2
                                        ; =>    This Inner Loop Header: Depth=3
	global_load_dwordx2 v[36:37], v[32:33], off
	v_cmp_eq_u32_e32 vcc, s25, v2
	v_add_u32_e32 v35, 1, v34
	v_add_u32_e32 v34, 0x100, v34
	v_cmp_lt_i32_e64 s[0:1], s96, v34
	v_lshl_add_u64 v[32:33], v[32:33], 0, s[86:87]
	s_waitcnt vmcnt(0)
	v_cmp_lt_f64_e64 s[30:31], v[30:31], |v[36:37]|
	v_and_b32_e32 v38, 0x7fffffff, v37
	s_or_b64 vcc, s[30:31], vcc
	v_cndmask_b32_e32 v31, v31, v38, vcc
	v_cndmask_b32_e32 v30, v30, v36, vcc
	s_or_b64 s[26:27], s[0:1], s[26:27]
	v_cndmask_b32_e32 v2, v2, v35, vcc
	s_andn2_b64 exec, exec, s[26:27]
	s_cbranch_execnz .LBB20_72
; %bb.73:                               ;   in Loop: Header=BB20_27 Depth=2
	s_or_b64 exec, exec, s[26:27]
.LBB20_74:                              ;   Parent Loop BB20_17 Depth=1
                                        ;     Parent Loop BB20_27 Depth=2
                                        ; =>    This Loop Header: Depth=3
                                        ;         Child Loop BB20_109 Depth 4
                                        ;         Child Loop BB20_112 Depth 4
	;; [unrolled: 1-line block ×4, first 2 shown]
                                        ;           Child Loop BB20_128 Depth 5
                                        ;         Child Loop BB20_142 Depth 4
                                        ;           Child Loop BB20_143 Depth 5
                                        ;           Child Loop BB20_145 Depth 5
                                        ;         Child Loop BB20_150 Depth 4
	s_or_b64 exec, exec, s[18:19]
	ds_write_b64 v1, v[30:31]
	ds_write_b32 v47, v2 offset:4096
	s_waitcnt lgkmcnt(0)
	s_barrier
	s_and_saveexec_b64 s[18:19], s[2:3]
	s_cbranch_execz .LBB20_80
; %bb.75:                               ;   in Loop: Header=BB20_74 Depth=3
	ds_read_b64 v[32:33], v1 offset:1024
	ds_read_b32 v34, v47 offset:4608
	s_waitcnt lgkmcnt(1)
	v_cmp_lt_f64_e64 s[26:27], v[30:31], v[32:33]
	v_cmp_nlt_f64_e32 vcc, v[30:31], v[32:33]
	s_and_saveexec_b64 s[30:31], vcc
	s_cbranch_execz .LBB20_77
; %bb.76:                               ;   in Loop: Header=BB20_74 Depth=3
	v_cmp_eq_f64_e32 vcc, v[30:31], v[32:33]
	s_waitcnt lgkmcnt(0)
	v_cmp_gt_i32_e64 s[0:1], v2, v34
	s_and_b64 s[0:1], vcc, s[0:1]
	s_andn2_b64 s[26:27], s[26:27], exec
	s_and_b64 s[0:1], s[0:1], exec
	s_or_b64 s[26:27], s[26:27], s[0:1]
.LBB20_77:                              ;   in Loop: Header=BB20_74 Depth=3
	s_or_b64 exec, exec, s[30:31]
	s_and_saveexec_b64 s[0:1], s[26:27]
	s_cbranch_execz .LBB20_79
; %bb.78:                               ;   in Loop: Header=BB20_74 Depth=3
	s_waitcnt lgkmcnt(0)
	v_mov_b32_e32 v2, v34
	v_mov_b64_e32 v[30:31], v[32:33]
	ds_write_b64 v1, v[32:33]
	ds_write_b32 v47, v34 offset:4096
.LBB20_79:                              ;   in Loop: Header=BB20_74 Depth=3
	s_or_b64 exec, exec, s[0:1]
.LBB20_80:                              ;   in Loop: Header=BB20_74 Depth=3
	s_or_b64 exec, exec, s[18:19]
	s_waitcnt lgkmcnt(0)
	s_barrier
	s_and_saveexec_b64 s[26:27], s[4:5]
	s_cbranch_execz .LBB20_107
; %bb.81:                               ;   in Loop: Header=BB20_74 Depth=3
	ds_read_b64 v[32:33], v1 offset:512
	ds_read_b32 v34, v47 offset:4352
	s_waitcnt lgkmcnt(1)
	v_cmp_lt_f64_e64 s[18:19], v[30:31], v[32:33]
	v_cmp_nlt_f64_e32 vcc, v[30:31], v[32:33]
	s_and_saveexec_b64 s[30:31], vcc
	s_cbranch_execz .LBB20_83
; %bb.82:                               ;   in Loop: Header=BB20_74 Depth=3
	v_cmp_eq_f64_e32 vcc, v[30:31], v[32:33]
	s_waitcnt lgkmcnt(0)
	v_cmp_gt_i32_e64 s[0:1], v2, v34
	s_and_b64 s[0:1], vcc, s[0:1]
	s_andn2_b64 s[18:19], s[18:19], exec
	s_and_b64 s[0:1], s[0:1], exec
	s_or_b64 s[18:19], s[18:19], s[0:1]
.LBB20_83:                              ;   in Loop: Header=BB20_74 Depth=3
	s_or_b64 exec, exec, s[30:31]
	s_and_saveexec_b64 s[0:1], s[18:19]
	s_cbranch_execz .LBB20_85
; %bb.84:                               ;   in Loop: Header=BB20_74 Depth=3
	v_mov_b64_e32 v[30:31], v[32:33]
	s_waitcnt lgkmcnt(0)
	v_mov_b32_e32 v2, v34
	ds_write_b64 v1, v[32:33]
	ds_write_b32 v47, v34 offset:4096
.LBB20_85:                              ;   in Loop: Header=BB20_74 Depth=3
	s_or_b64 exec, exec, s[0:1]
	ds_read_b64 v[32:33], v1 offset:256
	s_waitcnt lgkmcnt(1)
	ds_read_b32 v34, v47 offset:4224
	s_waitcnt lgkmcnt(1)
	v_cmp_lt_f64_e64 s[18:19], v[30:31], v[32:33]
	v_cmp_nlt_f64_e32 vcc, v[30:31], v[32:33]
	s_and_saveexec_b64 s[30:31], vcc
	s_cbranch_execz .LBB20_87
; %bb.86:                               ;   in Loop: Header=BB20_74 Depth=3
	v_cmp_eq_f64_e32 vcc, v[30:31], v[32:33]
	s_waitcnt lgkmcnt(0)
	v_cmp_gt_i32_e64 s[0:1], v2, v34
	s_and_b64 s[0:1], vcc, s[0:1]
	s_andn2_b64 s[18:19], s[18:19], exec
	s_and_b64 s[0:1], s[0:1], exec
	s_or_b64 s[18:19], s[18:19], s[0:1]
.LBB20_87:                              ;   in Loop: Header=BB20_74 Depth=3
	s_or_b64 exec, exec, s[30:31]
	s_and_saveexec_b64 s[0:1], s[18:19]
	s_cbranch_execz .LBB20_89
; %bb.88:                               ;   in Loop: Header=BB20_74 Depth=3
	v_mov_b64_e32 v[30:31], v[32:33]
	s_waitcnt lgkmcnt(0)
	v_mov_b32_e32 v2, v34
	ds_write_b64 v1, v[32:33]
	ds_write_b32 v47, v34 offset:4096
.LBB20_89:                              ;   in Loop: Header=BB20_74 Depth=3
	s_or_b64 exec, exec, s[0:1]
	ds_read_b64 v[32:33], v1 offset:128
	s_waitcnt lgkmcnt(1)
	;; [unrolled: 28-line block ×4, first 2 shown]
	ds_read_b32 v34, v47 offset:4112
	s_waitcnt lgkmcnt(1)
	v_cmp_lt_f64_e64 s[18:19], v[30:31], v[32:33]
	v_cmp_nlt_f64_e32 vcc, v[30:31], v[32:33]
	s_and_saveexec_b64 s[30:31], vcc
	s_cbranch_execz .LBB20_99
; %bb.98:                               ;   in Loop: Header=BB20_74 Depth=3
	v_cmp_eq_f64_e32 vcc, v[30:31], v[32:33]
	s_waitcnt lgkmcnt(0)
	v_cmp_gt_i32_e64 s[0:1], v2, v34
	s_and_b64 s[0:1], vcc, s[0:1]
	s_andn2_b64 s[18:19], s[18:19], exec
	s_and_b64 s[0:1], s[0:1], exec
	s_or_b64 s[18:19], s[18:19], s[0:1]
.LBB20_99:                              ;   in Loop: Header=BB20_74 Depth=3
	s_or_b64 exec, exec, s[30:31]
	s_and_saveexec_b64 s[0:1], s[18:19]
	s_cbranch_execz .LBB20_101
; %bb.100:                              ;   in Loop: Header=BB20_74 Depth=3
	v_mov_b64_e32 v[30:31], v[32:33]
	s_waitcnt lgkmcnt(0)
	v_mov_b32_e32 v2, v34
	ds_write_b64 v1, v[32:33]
	ds_write_b32 v47, v34 offset:4096
.LBB20_101:                             ;   in Loop: Header=BB20_74 Depth=3
	s_or_b64 exec, exec, s[0:1]
	ds_read_b64 v[32:33], v1 offset:16
	s_waitcnt lgkmcnt(1)
	ds_read_b32 v34, v47 offset:4104
	s_waitcnt lgkmcnt(1)
	v_cmp_lt_f64_e64 s[18:19], v[30:31], v[32:33]
	v_cmp_nlt_f64_e32 vcc, v[30:31], v[32:33]
	s_and_saveexec_b64 s[30:31], vcc
	s_cbranch_execz .LBB20_103
; %bb.102:                              ;   in Loop: Header=BB20_74 Depth=3
	v_cmp_eq_f64_e32 vcc, v[30:31], v[32:33]
	s_waitcnt lgkmcnt(0)
	v_cmp_gt_i32_e64 s[0:1], v2, v34
	s_and_b64 s[0:1], vcc, s[0:1]
	s_andn2_b64 s[18:19], s[18:19], exec
	s_and_b64 s[0:1], s[0:1], exec
	s_or_b64 s[18:19], s[18:19], s[0:1]
.LBB20_103:                             ;   in Loop: Header=BB20_74 Depth=3
	s_or_b64 exec, exec, s[30:31]
	s_and_saveexec_b64 s[0:1], s[18:19]
	s_cbranch_execz .LBB20_105
; %bb.104:                              ;   in Loop: Header=BB20_74 Depth=3
	v_mov_b64_e32 v[30:31], v[32:33]
	s_waitcnt lgkmcnt(0)
	v_mov_b32_e32 v2, v34
	ds_write_b64 v1, v[32:33]
	ds_write_b32 v47, v34 offset:4096
.LBB20_105:                             ;   in Loop: Header=BB20_74 Depth=3
	s_or_b64 exec, exec, s[0:1]
	ds_read_b64 v[32:33], v1 offset:8
	s_waitcnt lgkmcnt(1)
	ds_read_b32 v34, v47 offset:4100
	s_waitcnt lgkmcnt(1)
	v_cmp_eq_f64_e64 s[0:1], v[30:31], v[32:33]
	s_waitcnt lgkmcnt(0)
	v_cmp_gt_i32_e64 s[18:19], v2, v34
	v_cmp_lt_f64_e32 vcc, v[30:31], v[32:33]
	s_and_b64 s[0:1], s[0:1], s[18:19]
	s_or_b64 s[0:1], vcc, s[0:1]
	s_and_b64 exec, exec, s[0:1]
	s_cbranch_execz .LBB20_107
; %bb.106:                              ;   in Loop: Header=BB20_74 Depth=3
	ds_write_b64 v1, v[32:33]
	ds_write_b32 v47, v34 offset:4096
.LBB20_107:                             ;   in Loop: Header=BB20_74 Depth=3
	s_or_b64 exec, exec, s[26:27]
	s_waitcnt lgkmcnt(0)
	s_barrier
	s_and_saveexec_b64 s[0:1], s[8:9]
	s_cbranch_execz .LBB20_110
; %bb.108:                              ;   in Loop: Header=BB20_74 Depth=3
	global_load_dwordx2 v[30:31], v3, s[78:79]
	ds_read_b64 v[32:33], v50
	v_mov_b32_e32 v2, s49
	v_mov_b32_e32 v34, s48
	s_mov_b64 s[18:19], 0
	s_waitcnt vmcnt(0)
	v_and_b32_e32 v35, 0x7fffffff, v31
	v_cmp_lt_f64_e64 vcc, s[48:49], |v[30:31]|
	s_nop 1
	v_cndmask_b32_e32 v31, v2, v35, vcc
	v_cndmask_b32_e32 v30, v34, v30, vcc
	v_mul_f64 v[34:35], v[22:23], v[30:31]
	s_waitcnt lgkmcnt(0)
	v_div_scale_f64 v[36:37], s[26:27], v[32:33], v[32:33], v[34:35]
	v_rcp_f64_e32 v[38:39], v[36:37]
	v_div_scale_f64 v[40:41], vcc, v[34:35], v[32:33], v[34:35]
	v_mov_b64_e32 v[30:31], v[8:9]
	v_fma_f64 v[42:43], -v[36:37], v[38:39], 1.0
	v_fmac_f64_e32 v[38:39], v[38:39], v[42:43]
	v_fma_f64 v[42:43], -v[36:37], v[38:39], 1.0
	v_fmac_f64_e32 v[38:39], v[38:39], v[42:43]
	v_mul_f64 v[42:43], v[40:41], v[38:39]
	v_fma_f64 v[36:37], -v[36:37], v[42:43], v[40:41]
	v_div_fmas_f64 v[36:37], v[36:37], v[38:39], v[42:43]
	v_div_fixup_f64 v[32:33], v[36:37], v[32:33], v[34:35]
	v_mov_b32_e32 v2, v0
.LBB20_109:                             ;   Parent Loop BB20_17 Depth=1
                                        ;     Parent Loop BB20_27 Depth=2
                                        ;       Parent Loop BB20_74 Depth=3
                                        ; =>      This Inner Loop Header: Depth=4
	global_load_dwordx2 v[34:35], v[30:31], off
	v_add_u32_e32 v2, 0x100, v2
	v_cmp_lt_i32_e32 vcc, s96, v2
	s_or_b64 s[18:19], vcc, s[18:19]
	s_waitcnt vmcnt(0)
	v_mul_f64 v[34:35], v[32:33], v[34:35]
	global_store_dwordx2 v[30:31], v[34:35], off
	v_lshl_add_u64 v[30:31], v[30:31], 0, s[86:87]
	s_andn2_b64 exec, exec, s[18:19]
	s_cbranch_execnz .LBB20_109
.LBB20_110:                             ;   in Loop: Header=BB20_74 Depth=3
	s_or_b64 exec, exec, s[0:1]
	s_barrier
	s_and_saveexec_b64 s[18:19], s[16:17]
	s_cbranch_execz .LBB20_138
; %bb.111:                              ;   in Loop: Header=BB20_74 Depth=3
	global_load_dwordx4 v[30:33], v3, s[36:37]
	global_load_dwordx2 v[34:35], v3, s[46:47] offset:8
	s_mov_b64 s[0:1], s[62:63]
	s_mov_b64 s[26:27], s[74:75]
	s_andn2_b64 vcc, exec, s[12:13]
	s_mov_b32 s30, s91
	s_waitcnt vmcnt(1)
	v_max_f64 v[32:33], |v[32:33]|, |v[32:33]|
	s_waitcnt vmcnt(0)
	v_max_f64 v[34:35], |v[34:35]|, |v[34:35]|
	v_max_f64 v[30:31], |v[30:31]|, |v[30:31]|
	v_max_f64 v[32:33], v[32:33], v[34:35]
	v_max_f64 v[30:31], v[30:31], v[32:33]
	s_cbranch_vccnz .LBB20_113
.LBB20_112:                             ;   Parent Loop BB20_17 Depth=1
                                        ;     Parent Loop BB20_27 Depth=2
                                        ;       Parent Loop BB20_74 Depth=3
                                        ; =>      This Inner Loop Header: Depth=4
	s_add_u32 s34, s26, s40
	s_addc_u32 s35, s27, s64
	global_load_dwordx2 v[32:33], v3, s[26:27]
	global_load_dwordx2 v[34:35], v3, s[0:1]
	;; [unrolled: 1-line block ×3, first 2 shown]
	s_add_i32 s30, s30, -1
	s_add_u32 s26, s26, 8
	v_max_f64 v[30:31], v[30:31], v[30:31]
	s_addc_u32 s27, s27, 0
	s_add_u32 s0, s0, 8
	s_addc_u32 s1, s1, 0
	s_cmp_lg_u32 s30, 0
	s_waitcnt vmcnt(2)
	v_max_f64 v[32:33], |v[32:33]|, |v[32:33]|
	s_waitcnt vmcnt(1)
	v_max_f64 v[34:35], |v[34:35]|, |v[34:35]|
	v_max_f64 v[30:31], v[30:31], v[32:33]
	s_waitcnt vmcnt(0)
	v_max_f64 v[32:33], |v[36:37]|, |v[36:37]|
	v_max_f64 v[32:33], v[32:33], v[34:35]
	v_max_f64 v[30:31], v[30:31], v[32:33]
	s_cbranch_scc1 .LBB20_112
.LBB20_113:                             ;   in Loop: Header=BB20_74 Depth=3
	s_mov_b32 s38, s96
	s_mov_b64 s[0:1], s[66:67]
	s_mov_b64 s[26:27], s[60:61]
	;; [unrolled: 1-line block ×3, first 2 shown]
	s_branch .LBB20_115
.LBB20_114:                             ;   in Loop: Header=BB20_115 Depth=4
	s_add_u32 s34, s34, 8
	s_addc_u32 s35, s35, 0
	s_add_u32 s26, s26, 8
	s_addc_u32 s27, s27, 0
	;; [unrolled: 2-line block ×3, first 2 shown]
	s_add_i32 s38, s38, -1
	s_cmp_lg_u32 s38, 0
	s_cbranch_scc0 .LBB20_119
.LBB20_115:                             ;   Parent Loop BB20_17 Depth=1
                                        ;     Parent Loop BB20_27 Depth=2
                                        ;       Parent Loop BB20_74 Depth=3
                                        ; =>      This Inner Loop Header: Depth=4
	global_load_dword v2, v3, s[0:1]
	s_waitcnt vmcnt(0)
	v_cmp_ne_u32_e32 vcc, 0, v2
	s_cbranch_vccz .LBB20_117
; %bb.116:                              ;   in Loop: Header=BB20_115 Depth=4
	global_load_dwordx4 v[32:35], v3, s[34:35] offset:-8
	s_waitcnt vmcnt(0)
	global_store_dwordx2 v3, v[34:35], s[34:35] offset:-8
	global_load_dwordx2 v[36:37], v3, s[26:27]
	s_waitcnt vmcnt(0)
	v_fma_f64 v[32:33], -v[34:35], v[36:37], v[32:33]
	global_store_dwordx2 v3, v[32:33], s[34:35]
	s_cbranch_execnz .LBB20_114
	s_branch .LBB20_118
.LBB20_117:                             ;   in Loop: Header=BB20_115 Depth=4
.LBB20_118:                             ;   in Loop: Header=BB20_115 Depth=4
	global_load_dwordx4 v[32:35], v3, s[34:35] offset:-8
	global_load_dwordx2 v[36:37], v3, s[26:27]
	s_waitcnt vmcnt(0)
	v_fma_f64 v[32:33], -v[36:37], v[32:33], v[34:35]
	global_store_dwordx2 v3, v[32:33], s[34:35]
	s_branch .LBB20_114
.LBB20_119:                             ;   in Loop: Header=BB20_74 Depth=3
	v_mul_f64 v[30:31], s[48:49], v[30:31]
	v_cmp_eq_f64_e32 vcc, 0, v[30:31]
	s_and_b64 s[0:1], vcc, exec
	v_readfirstlane_b32 s26, v31
	v_readfirstlane_b32 s0, v30
	s_cselect_b32 s55, s49, s26
	s_cselect_b32 s58, s48, s0
	s_and_b32 s59, s55, 0x7fffffff
	s_mov_b32 s70, s58
	s_mov_b32 s38, s96
	s_branch .LBB20_122
.LBB20_120:                             ;   in Loop: Header=BB20_122 Depth=4
	v_mov_b64_e32 v[32:33], v[40:41]
.LBB20_121:                             ;   in Loop: Header=BB20_122 Depth=4
	v_div_scale_f64 v[34:35], s[0:1], v[32:33], v[32:33], v[30:31]
	v_rcp_f64_e32 v[36:37], v[34:35]
	v_div_scale_f64 v[38:39], vcc, v[30:31], v[32:33], v[30:31]
	s_add_i32 s0, s38, -1
	v_fma_f64 v[40:41], -v[34:35], v[36:37], 1.0
	v_fmac_f64_e32 v[36:37], v[36:37], v[40:41]
	v_fma_f64 v[40:41], -v[34:35], v[36:37], 1.0
	v_fmac_f64_e32 v[36:37], v[36:37], v[40:41]
	v_mul_f64 v[40:41], v[38:39], v[36:37]
	v_fma_f64 v[34:35], -v[34:35], v[40:41], v[38:39]
	v_div_fmas_f64 v[34:35], v[34:35], v[36:37], v[40:41]
	v_div_fixup_f64 v[30:31], v[34:35], v[32:33], v[30:31]
	s_cmp_gt_i32 s38, 0
	s_mov_b32 s38, s0
	global_store_dwordx2 v3, v[30:31], s[26:27]
	s_cbranch_scc0 .LBB20_138
.LBB20_122:                             ;   Parent Loop BB20_17 Depth=1
                                        ;     Parent Loop BB20_27 Depth=2
                                        ;       Parent Loop BB20_74 Depth=3
                                        ; =>      This Loop Header: Depth=4
                                        ;           Child Loop BB20_128 Depth 5
	s_lshl_b64 s[0:1], s[38:39], 3
	s_add_u32 s26, s20, s0
	s_addc_u32 s27, s21, s1
	global_load_dwordx2 v[30:31], v3, s[26:27]
	s_cmp_ge_i32 s38, s96
	s_cbranch_scc1 .LBB20_124
; %bb.123:                              ;   in Loop: Header=BB20_122 Depth=4
	s_add_u32 s30, s46, s0
	s_addc_u32 s31, s47, s1
	global_load_dwordx2 v[32:33], v3, s[30:31] offset:8
	global_load_dwordx2 v[34:35], v3, s[26:27] offset:8
	s_waitcnt vmcnt(0)
	v_fma_f64 v[30:31], -v[32:33], v[34:35], v[30:31]
.LBB20_124:                             ;   in Loop: Header=BB20_122 Depth=4
	s_cmp_ge_i32 s38, s91
	s_cbranch_scc1 .LBB20_126
; %bb.125:                              ;   in Loop: Header=BB20_122 Depth=4
	s_add_u32 s30, s62, s0
	s_addc_u32 s31, s63, s1
	global_load_dwordx2 v[32:33], v3, s[30:31]
	global_load_dwordx2 v[34:35], v3, s[26:27] offset:16
	s_waitcnt vmcnt(0)
	v_fma_f64 v[30:31], -v[32:33], v[34:35], v[30:31]
.LBB20_126:                             ;   in Loop: Header=BB20_122 Depth=4
	s_add_u32 s0, s36, s0
	s_addc_u32 s1, s37, s1
	global_load_dwordx2 v[32:33], v3, s[0:1]
	s_waitcnt vmcnt(0)
	v_cmp_nlt_f64_e64 s[0:1], |v[32:33]|, 1.0
	s_and_b64 vcc, exec, s[0:1]
	s_cbranch_vccnz .LBB20_121
; %bb.127:                              ;   in Loop: Header=BB20_122 Depth=4
	v_cmp_nle_f64_e32 vcc, 0, v[32:33]
	s_xor_b32 s30, s59, 0x80000000
	s_and_b32 s31, s55, 0x7fffffff
	s_and_b64 s[0:1], vcc, exec
	s_cselect_b32 s1, s30, s31
	s_cselect_b32 s0, s70, s58
	v_and_b32_e32 v39, 0x7fffffff, v33
	v_mov_b32_e32 v38, v32
	v_mul_f64 v[34:35], s[50:51], |v[30:31]|
	v_mov_b64_e32 v[36:37], s[0:1]
.LBB20_128:                             ;   Parent Loop BB20_17 Depth=1
                                        ;     Parent Loop BB20_27 Depth=2
                                        ;       Parent Loop BB20_74 Depth=3
                                        ;         Parent Loop BB20_122 Depth=4
                                        ; =>        This Inner Loop Header: Depth=5
	v_cmp_ngt_f64_e32 vcc, s[50:51], v[38:39]
	s_mov_b64 s[0:1], -1
	s_mov_b64 s[30:31], 0
	s_mov_b64 s[34:35], -1
	s_cbranch_vccnz .LBB20_132
; %bb.129:                              ;   in Loop: Header=BB20_128 Depth=5
	s_andn2_b64 vcc, exec, s[34:35]
	s_cbranch_vccz .LBB20_133
.LBB20_130:                             ;   in Loop: Header=BB20_128 Depth=5
	s_andn2_b64 vcc, exec, s[30:31]
	s_cbranch_vccnz .LBB20_134
.LBB20_131:                             ;   in Loop: Header=BB20_128 Depth=5
	v_add_f64 v[40:41], v[32:33], v[36:37]
	v_add_f64 v[36:37], v[36:37], v[36:37]
	v_and_b32_e32 v39, 0x7fffffff, v41
	v_mov_b32_e32 v38, v40
	v_cmp_nlt_f64_e64 s[30:31], |v[40:41]|, 1.0
	s_mov_b64 s[0:1], -1
	s_andn2_b64 vcc, exec, s[30:31]
	s_cbranch_vccnz .LBB20_135
	s_branch .LBB20_136
.LBB20_132:                             ;   in Loop: Header=BB20_128 Depth=5
	v_mul_f64 v[40:41], v[6:7], v[38:39]
	v_cmp_gt_f64_e64 s[30:31], |v[30:31]|, v[40:41]
	s_cbranch_execnz .LBB20_130
.LBB20_133:                             ;   in Loop: Header=BB20_128 Depth=5
	v_cmp_eq_f64_e32 vcc, 0, v[32:33]
	v_cmp_gt_f64_e64 s[0:1], v[34:35], v[38:39]
	s_or_b64 s[30:31], vcc, s[0:1]
	s_mov_b64 s[0:1], 0
	s_andn2_b64 vcc, exec, s[30:31]
	s_cbranch_vccz .LBB20_131
.LBB20_134:                             ;   in Loop: Header=BB20_122 Depth=4
                                        ; implicit-def: $vgpr36_vgpr37
                                        ; implicit-def: $vgpr38_vgpr39
	v_mov_b64_e32 v[40:41], v[32:33]
	s_branch .LBB20_136
.LBB20_135:                             ;   in Loop: Header=BB20_128 Depth=5
	v_mov_b64_e32 v[32:33], v[40:41]
	s_branch .LBB20_128
.LBB20_136:                             ;   in Loop: Header=BB20_122 Depth=4
	s_andn2_b64 vcc, exec, s[0:1]
	s_cbranch_vccz .LBB20_120
; %bb.137:                              ;   in Loop: Header=BB20_122 Depth=4
	v_mul_f64 v[30:31], v[6:7], v[30:31]
	v_mul_f64 v[40:41], v[6:7], v[32:33]
	s_branch .LBB20_120
.LBB20_138:                             ;   in Loop: Header=BB20_74 Depth=3
	s_or_b64 exec, exec, s[18:19]
	s_andn2_b64 vcc, exec, s[84:85]
	s_barrier
	s_cbranch_vccnz .LBB20_148
; %bb.139:                              ;   in Loop: Header=BB20_74 Depth=3
	s_and_b64 s[0:1], s[68:69], exec
	s_cselect_b32 s30, s80, s89
	s_cmp_eq_u32 s30, s80
	s_mov_b32 s89, s80
	s_cbranch_scc1 .LBB20_148
; %bb.140:                              ;   in Loop: Header=BB20_74 Depth=3
	s_cmp_lt_i32 s30, s80
	s_cselect_b64 s[0:1], -1, 0
	s_and_b64 s[18:19], s[16:17], s[0:1]
	s_and_saveexec_b64 s[0:1], s[18:19]
	s_cbranch_execz .LBB20_147
; %bb.141:                              ;   in Loop: Header=BB20_74 Depth=3
	s_mul_i32 s18, s41, s30
	s_add_i32 s31, s92, s18
	s_mov_b32 s34, s30
.LBB20_142:                             ;   Parent Loop BB20_17 Depth=1
                                        ;     Parent Loop BB20_27 Depth=2
                                        ;       Parent Loop BB20_74 Depth=3
                                        ; =>      This Loop Header: Depth=4
                                        ;           Child Loop BB20_143 Depth 5
                                        ;           Child Loop BB20_145 Depth 5
	v_mov_b64_e32 v[30:31], 0
	s_mov_b64 s[18:19], s[20:21]
	s_mov_b32 s26, s31
	s_mov_b32 s35, s93
.LBB20_143:                             ;   Parent Loop BB20_17 Depth=1
                                        ;     Parent Loop BB20_27 Depth=2
                                        ;       Parent Loop BB20_74 Depth=3
                                        ;         Parent Loop BB20_142 Depth=4
                                        ; =>        This Inner Loop Header: Depth=5
	s_ashr_i32 s27, s26, 31
	s_lshl_b64 s[58:59], s[26:27], 3
	s_add_u32 s58, s28, s58
	s_addc_u32 s59, s29, s59
	global_load_dwordx2 v[32:33], v3, s[18:19]
	global_load_dwordx2 v[34:35], v3, s[58:59]
	s_add_i32 s35, s35, -1
	s_add_i32 s26, s26, 1
	s_add_u32 s18, s18, 8
	s_addc_u32 s19, s19, 0
	s_cmp_lg_u32 s35, 0
	s_waitcnt vmcnt(0)
	v_fmac_f64_e32 v[30:31], v[32:33], v[34:35]
	s_cbranch_scc1 .LBB20_143
; %bb.144:                              ;   in Loop: Header=BB20_142 Depth=4
	s_mov_b32 s26, 0
	s_mov_b64 s[18:19], s[20:21]
.LBB20_145:                             ;   Parent Loop BB20_17 Depth=1
                                        ;     Parent Loop BB20_27 Depth=2
                                        ;       Parent Loop BB20_74 Depth=3
                                        ;         Parent Loop BB20_142 Depth=4
                                        ; =>        This Inner Loop Header: Depth=5
	s_add_i32 s58, s31, s26
	s_ashr_i32 s59, s58, 31
	s_lshl_b64 s[58:59], s[58:59], 3
	s_add_u32 s58, s28, s58
	s_addc_u32 s59, s29, s59
	global_load_dwordx2 v[32:33], v3, s[18:19]
	global_load_dwordx2 v[34:35], v3, s[58:59]
	s_add_i32 s26, s26, 1
	s_waitcnt vmcnt(0)
	v_fma_f64 v[32:33], -v[30:31], v[34:35], v[32:33]
	global_store_dwordx2 v3, v[32:33], s[18:19]
	s_add_u32 s18, s18, 8
	s_addc_u32 s19, s19, 0
	s_cmp_lg_u32 s93, s26
	s_cbranch_scc1 .LBB20_145
; %bb.146:                              ;   in Loop: Header=BB20_142 Depth=4
	s_add_i32 s34, s34, 1
	s_add_i32 s31, s31, s41
	s_cmp_lt_i32 s34, s80
	s_cbranch_scc1 .LBB20_142
.LBB20_147:                             ;   in Loop: Header=BB20_74 Depth=3
	s_or_b64 exec, exec, s[0:1]
	s_mov_b32 s89, s30
	s_barrier
.LBB20_148:                             ;   in Loop: Header=BB20_74 Depth=3
	v_mov_b64_e32 v[30:31], 0
	v_bfrev_b32_e32 v2, -2
	s_and_saveexec_b64 s[18:19], s[8:9]
	s_cbranch_execz .LBB20_152
; %bb.149:                              ;   in Loop: Header=BB20_74 Depth=3
	v_mov_b64_e32 v[30:31], 0
	v_bfrev_b32_e32 v2, -2
	s_mov_b64 s[26:27], 0
	v_mov_b64_e32 v[32:33], v[8:9]
	v_mov_b32_e32 v34, v0
.LBB20_150:                             ;   Parent Loop BB20_17 Depth=1
                                        ;     Parent Loop BB20_27 Depth=2
                                        ;       Parent Loop BB20_74 Depth=3
                                        ; =>      This Inner Loop Header: Depth=4
	global_load_dwordx2 v[36:37], v[32:33], off
	v_cmp_eq_u32_e32 vcc, s25, v2
	v_add_u32_e32 v35, 1, v34
	v_add_u32_e32 v34, 0x100, v34
	v_cmp_lt_i32_e64 s[0:1], s96, v34
	v_lshl_add_u64 v[32:33], v[32:33], 0, s[86:87]
	s_waitcnt vmcnt(0)
	v_cmp_lt_f64_e64 s[30:31], v[30:31], |v[36:37]|
	v_and_b32_e32 v38, 0x7fffffff, v37
	s_or_b64 vcc, s[30:31], vcc
	v_cndmask_b32_e32 v31, v31, v38, vcc
	v_cndmask_b32_e32 v30, v30, v36, vcc
	s_or_b64 s[26:27], s[0:1], s[26:27]
	v_cndmask_b32_e32 v2, v2, v35, vcc
	s_andn2_b64 exec, exec, s[26:27]
	s_cbranch_execnz .LBB20_150
; %bb.151:                              ;   in Loop: Header=BB20_74 Depth=3
	s_or_b64 exec, exec, s[26:27]
.LBB20_152:                             ;   in Loop: Header=BB20_74 Depth=3
	s_or_b64 exec, exec, s[18:19]
	ds_write_b64 v1, v[30:31]
	ds_write_b32 v47, v2 offset:4096
	s_waitcnt lgkmcnt(0)
	s_barrier
	s_and_saveexec_b64 s[18:19], s[2:3]
	s_cbranch_execz .LBB20_158
; %bb.153:                              ;   in Loop: Header=BB20_74 Depth=3
	ds_read_b64 v[32:33], v1 offset:1024
	ds_read_b32 v34, v47 offset:4608
	s_waitcnt lgkmcnt(1)
	v_cmp_lt_f64_e64 s[26:27], v[30:31], v[32:33]
	v_cmp_nlt_f64_e32 vcc, v[30:31], v[32:33]
	s_and_saveexec_b64 s[30:31], vcc
	s_cbranch_execz .LBB20_155
; %bb.154:                              ;   in Loop: Header=BB20_74 Depth=3
	v_cmp_eq_f64_e32 vcc, v[30:31], v[32:33]
	s_waitcnt lgkmcnt(0)
	v_cmp_gt_i32_e64 s[0:1], v2, v34
	s_and_b64 s[0:1], vcc, s[0:1]
	s_andn2_b64 s[26:27], s[26:27], exec
	s_and_b64 s[0:1], s[0:1], exec
	s_or_b64 s[26:27], s[26:27], s[0:1]
.LBB20_155:                             ;   in Loop: Header=BB20_74 Depth=3
	s_or_b64 exec, exec, s[30:31]
	s_and_saveexec_b64 s[0:1], s[26:27]
	s_cbranch_execz .LBB20_157
; %bb.156:                              ;   in Loop: Header=BB20_74 Depth=3
	s_waitcnt lgkmcnt(0)
	v_mov_b32_e32 v2, v34
	v_mov_b64_e32 v[30:31], v[32:33]
	ds_write_b64 v1, v[32:33]
	ds_write_b32 v47, v34 offset:4096
.LBB20_157:                             ;   in Loop: Header=BB20_74 Depth=3
	s_or_b64 exec, exec, s[0:1]
.LBB20_158:                             ;   in Loop: Header=BB20_74 Depth=3
	s_or_b64 exec, exec, s[18:19]
	s_waitcnt lgkmcnt(0)
	s_barrier
	s_and_saveexec_b64 s[26:27], s[4:5]
	s_cbranch_execz .LBB20_185
; %bb.159:                              ;   in Loop: Header=BB20_74 Depth=3
	ds_read_b64 v[32:33], v1 offset:512
	ds_read_b32 v34, v47 offset:4352
	s_waitcnt lgkmcnt(1)
	v_cmp_lt_f64_e64 s[18:19], v[30:31], v[32:33]
	v_cmp_nlt_f64_e32 vcc, v[30:31], v[32:33]
	s_and_saveexec_b64 s[30:31], vcc
	s_cbranch_execz .LBB20_161
; %bb.160:                              ;   in Loop: Header=BB20_74 Depth=3
	v_cmp_eq_f64_e32 vcc, v[30:31], v[32:33]
	s_waitcnt lgkmcnt(0)
	v_cmp_gt_i32_e64 s[0:1], v2, v34
	s_and_b64 s[0:1], vcc, s[0:1]
	s_andn2_b64 s[18:19], s[18:19], exec
	s_and_b64 s[0:1], s[0:1], exec
	s_or_b64 s[18:19], s[18:19], s[0:1]
.LBB20_161:                             ;   in Loop: Header=BB20_74 Depth=3
	s_or_b64 exec, exec, s[30:31]
	s_and_saveexec_b64 s[0:1], s[18:19]
	s_cbranch_execz .LBB20_163
; %bb.162:                              ;   in Loop: Header=BB20_74 Depth=3
	v_mov_b64_e32 v[30:31], v[32:33]
	s_waitcnt lgkmcnt(0)
	v_mov_b32_e32 v2, v34
	ds_write_b64 v1, v[32:33]
	ds_write_b32 v47, v34 offset:4096
.LBB20_163:                             ;   in Loop: Header=BB20_74 Depth=3
	s_or_b64 exec, exec, s[0:1]
	ds_read_b64 v[32:33], v1 offset:256
	s_waitcnt lgkmcnt(1)
	ds_read_b32 v34, v47 offset:4224
	s_waitcnt lgkmcnt(1)
	v_cmp_lt_f64_e64 s[18:19], v[30:31], v[32:33]
	v_cmp_nlt_f64_e32 vcc, v[30:31], v[32:33]
	s_and_saveexec_b64 s[30:31], vcc
	s_cbranch_execz .LBB20_165
; %bb.164:                              ;   in Loop: Header=BB20_74 Depth=3
	v_cmp_eq_f64_e32 vcc, v[30:31], v[32:33]
	s_waitcnt lgkmcnt(0)
	v_cmp_gt_i32_e64 s[0:1], v2, v34
	s_and_b64 s[0:1], vcc, s[0:1]
	s_andn2_b64 s[18:19], s[18:19], exec
	s_and_b64 s[0:1], s[0:1], exec
	s_or_b64 s[18:19], s[18:19], s[0:1]
.LBB20_165:                             ;   in Loop: Header=BB20_74 Depth=3
	s_or_b64 exec, exec, s[30:31]
	s_and_saveexec_b64 s[0:1], s[18:19]
	s_cbranch_execz .LBB20_167
; %bb.166:                              ;   in Loop: Header=BB20_74 Depth=3
	v_mov_b64_e32 v[30:31], v[32:33]
	s_waitcnt lgkmcnt(0)
	v_mov_b32_e32 v2, v34
	ds_write_b64 v1, v[32:33]
	ds_write_b32 v47, v34 offset:4096
.LBB20_167:                             ;   in Loop: Header=BB20_74 Depth=3
	s_or_b64 exec, exec, s[0:1]
	ds_read_b64 v[32:33], v1 offset:128
	s_waitcnt lgkmcnt(1)
	;; [unrolled: 28-line block ×6, first 2 shown]
	ds_read_b32 v34, v47 offset:4100
	s_waitcnt lgkmcnt(1)
	v_cmp_eq_f64_e64 s[0:1], v[30:31], v[32:33]
	s_waitcnt lgkmcnt(0)
	v_cmp_gt_i32_e64 s[18:19], v2, v34
	v_cmp_lt_f64_e32 vcc, v[30:31], v[32:33]
	s_and_b64 s[0:1], s[0:1], s[18:19]
	s_or_b64 s[0:1], vcc, s[0:1]
	s_and_b64 exec, exec, s[0:1]
	s_cbranch_execz .LBB20_185
; %bb.184:                              ;   in Loop: Header=BB20_74 Depth=3
	ds_write_b64 v1, v[32:33]
	ds_write_b32 v47, v34 offset:4096
.LBB20_185:                             ;   in Loop: Header=BB20_74 Depth=3
	s_or_b64 exec, exec, s[26:27]
	s_waitcnt lgkmcnt(0)
	s_barrier
	ds_read_b64 v[30:31], v50
	s_add_i32 s18, s54, 1
	s_waitcnt lgkmcnt(0)
	v_cmp_ge_f64_e32 vcc, v[30:31], v[20:21]
	s_nop 1
	v_cndmask_b32_e64 v2, 0, 1, vcc
	s_nop 0
	v_readfirstlane_b32 s0, v2
	s_add_i32 s11, s11, s0
	s_cmp_lt_u32 s54, 4
	s_cselect_b64 s[26:27], -1, 0
	s_cmp_lt_u32 s11, 2
	s_cselect_b64 s[0:1], -1, 0
	s_and_b64 s[26:27], s[26:27], s[0:1]
	s_and_b64 vcc, exec, s[26:27]
	s_cbranch_vccz .LBB20_187
; %bb.186:                              ;   in Loop: Header=BB20_74 Depth=3
	s_mov_b32 s54, s18
	v_mov_b64_e32 v[30:31], 0
	v_bfrev_b32_e32 v2, -2
	s_and_saveexec_b64 s[18:19], s[8:9]
	s_cbranch_execnz .LBB20_71
	s_branch .LBB20_74
.LBB20_187:                             ;   in Loop: Header=BB20_27 Depth=2
	v_readlane_b32 s14, v64, 5
	v_readlane_b32 s15, v64, 6
	s_and_b64 s[18:19], s[14:15], s[0:1]
	s_and_saveexec_b64 s[0:1], s[18:19]
	s_cbranch_execz .LBB20_189
; %bb.188:                              ;   in Loop: Header=BB20_27 Depth=2
	ds_read_b32 v30, v3
	s_add_i32 s11, s80, 1
	v_mov_b32_e32 v32, s11
	s_waitcnt lgkmcnt(0)
	v_ashrrev_i32_e32 v31, 31, v30
	v_add_u32_e32 v2, 1, v30
	v_lshlrev_b64 v[30:31], 2, v[30:31]
	v_lshl_add_u64 v[30:31], s[72:73], 0, v[30:31]
	global_store_dword v[30:31], v32, off
	ds_write_b32 v3, v2
.LBB20_189:                             ;   in Loop: Header=BB20_27 Depth=2
	s_or_b64 exec, exec, s[0:1]
	v_mov_b64_e32 v[30:31], 0
	v_bfrev_b32_e32 v2, -2
	s_and_saveexec_b64 s[18:19], s[8:9]
	s_cbranch_execz .LBB20_193
; %bb.190:                              ;   in Loop: Header=BB20_27 Depth=2
	v_mov_b64_e32 v[30:31], 0
	v_bfrev_b32_e32 v2, -2
	s_mov_b64 s[26:27], 0
	v_mov_b64_e32 v[32:33], v[8:9]
	v_mov_b32_e32 v34, v0
.LBB20_191:                             ;   Parent Loop BB20_17 Depth=1
                                        ;     Parent Loop BB20_27 Depth=2
                                        ; =>    This Inner Loop Header: Depth=3
	global_load_dwordx2 v[36:37], v[32:33], off
	v_cmp_eq_u32_e32 vcc, s25, v2
	v_add_u32_e32 v35, 1, v34
	v_add_u32_e32 v34, 0x100, v34
	v_cmp_lt_i32_e64 s[0:1], s96, v34
	v_lshl_add_u64 v[32:33], v[32:33], 0, s[86:87]
	s_waitcnt vmcnt(0)
	v_cmp_lt_f64_e64 s[30:31], v[30:31], |v[36:37]|
	v_and_b32_e32 v38, 0x7fffffff, v37
	s_or_b64 vcc, s[30:31], vcc
	v_cndmask_b32_e32 v31, v31, v38, vcc
	v_cndmask_b32_e32 v30, v30, v36, vcc
	s_or_b64 s[26:27], s[0:1], s[26:27]
	v_cndmask_b32_e32 v2, v2, v35, vcc
	s_andn2_b64 exec, exec, s[26:27]
	s_cbranch_execnz .LBB20_191
; %bb.192:                              ;   in Loop: Header=BB20_27 Depth=2
	s_or_b64 exec, exec, s[26:27]
.LBB20_193:                             ;   in Loop: Header=BB20_27 Depth=2
	s_or_b64 exec, exec, s[18:19]
	ds_write_b64 v1, v[30:31]
	ds_write_b32 v47, v2 offset:4096
	s_waitcnt lgkmcnt(0)
	s_barrier
	s_and_saveexec_b64 s[18:19], s[2:3]
	s_cbranch_execz .LBB20_199
; %bb.194:                              ;   in Loop: Header=BB20_27 Depth=2
	ds_read_b64 v[32:33], v1 offset:1024
	ds_read_b32 v34, v47 offset:4608
	s_waitcnt lgkmcnt(1)
	v_cmp_lt_f64_e64 s[26:27], v[30:31], v[32:33]
	v_cmp_nlt_f64_e32 vcc, v[30:31], v[32:33]
	s_and_saveexec_b64 s[30:31], vcc
	s_cbranch_execz .LBB20_196
; %bb.195:                              ;   in Loop: Header=BB20_27 Depth=2
	v_cmp_eq_f64_e32 vcc, v[30:31], v[32:33]
	s_waitcnt lgkmcnt(0)
	v_cmp_gt_i32_e64 s[0:1], v2, v34
	s_and_b64 s[0:1], vcc, s[0:1]
	s_andn2_b64 s[26:27], s[26:27], exec
	s_and_b64 s[0:1], s[0:1], exec
	s_or_b64 s[26:27], s[26:27], s[0:1]
.LBB20_196:                             ;   in Loop: Header=BB20_27 Depth=2
	s_or_b64 exec, exec, s[30:31]
	s_and_saveexec_b64 s[0:1], s[26:27]
	s_cbranch_execz .LBB20_198
; %bb.197:                              ;   in Loop: Header=BB20_27 Depth=2
	s_waitcnt lgkmcnt(0)
	v_mov_b32_e32 v2, v34
	v_mov_b64_e32 v[30:31], v[32:33]
	ds_write_b64 v1, v[32:33]
	ds_write_b32 v47, v34 offset:4096
.LBB20_198:                             ;   in Loop: Header=BB20_27 Depth=2
	s_or_b64 exec, exec, s[0:1]
.LBB20_199:                             ;   in Loop: Header=BB20_27 Depth=2
	s_or_b64 exec, exec, s[18:19]
	s_waitcnt lgkmcnt(0)
	s_barrier
	s_and_saveexec_b64 s[26:27], s[4:5]
	s_cbranch_execz .LBB20_226
; %bb.200:                              ;   in Loop: Header=BB20_27 Depth=2
	ds_read_b64 v[32:33], v1 offset:512
	ds_read_b32 v34, v47 offset:4352
	s_waitcnt lgkmcnt(1)
	v_cmp_lt_f64_e64 s[18:19], v[30:31], v[32:33]
	v_cmp_nlt_f64_e32 vcc, v[30:31], v[32:33]
	s_and_saveexec_b64 s[30:31], vcc
	s_cbranch_execz .LBB20_202
; %bb.201:                              ;   in Loop: Header=BB20_27 Depth=2
	v_cmp_eq_f64_e32 vcc, v[30:31], v[32:33]
	s_waitcnt lgkmcnt(0)
	v_cmp_gt_i32_e64 s[0:1], v2, v34
	s_and_b64 s[0:1], vcc, s[0:1]
	s_andn2_b64 s[18:19], s[18:19], exec
	s_and_b64 s[0:1], s[0:1], exec
	s_or_b64 s[18:19], s[18:19], s[0:1]
.LBB20_202:                             ;   in Loop: Header=BB20_27 Depth=2
	s_or_b64 exec, exec, s[30:31]
	s_and_saveexec_b64 s[0:1], s[18:19]
	s_cbranch_execz .LBB20_204
; %bb.203:                              ;   in Loop: Header=BB20_27 Depth=2
	v_mov_b64_e32 v[30:31], v[32:33]
	s_waitcnt lgkmcnt(0)
	v_mov_b32_e32 v2, v34
	ds_write_b64 v1, v[32:33]
	ds_write_b32 v47, v34 offset:4096
.LBB20_204:                             ;   in Loop: Header=BB20_27 Depth=2
	s_or_b64 exec, exec, s[0:1]
	ds_read_b64 v[32:33], v1 offset:256
	s_waitcnt lgkmcnt(1)
	ds_read_b32 v34, v47 offset:4224
	s_waitcnt lgkmcnt(1)
	v_cmp_lt_f64_e64 s[18:19], v[30:31], v[32:33]
	v_cmp_nlt_f64_e32 vcc, v[30:31], v[32:33]
	s_and_saveexec_b64 s[30:31], vcc
	s_cbranch_execz .LBB20_206
; %bb.205:                              ;   in Loop: Header=BB20_27 Depth=2
	v_cmp_eq_f64_e32 vcc, v[30:31], v[32:33]
	s_waitcnt lgkmcnt(0)
	v_cmp_gt_i32_e64 s[0:1], v2, v34
	s_and_b64 s[0:1], vcc, s[0:1]
	s_andn2_b64 s[18:19], s[18:19], exec
	s_and_b64 s[0:1], s[0:1], exec
	s_or_b64 s[18:19], s[18:19], s[0:1]
.LBB20_206:                             ;   in Loop: Header=BB20_27 Depth=2
	s_or_b64 exec, exec, s[30:31]
	s_and_saveexec_b64 s[0:1], s[18:19]
	s_cbranch_execz .LBB20_208
; %bb.207:                              ;   in Loop: Header=BB20_27 Depth=2
	v_mov_b64_e32 v[30:31], v[32:33]
	s_waitcnt lgkmcnt(0)
	v_mov_b32_e32 v2, v34
	ds_write_b64 v1, v[32:33]
	ds_write_b32 v47, v34 offset:4096
.LBB20_208:                             ;   in Loop: Header=BB20_27 Depth=2
	s_or_b64 exec, exec, s[0:1]
	ds_read_b64 v[32:33], v1 offset:128
	s_waitcnt lgkmcnt(1)
	;; [unrolled: 28-line block ×6, first 2 shown]
	ds_read_b32 v34, v47 offset:4100
	s_waitcnt lgkmcnt(1)
	v_cmp_eq_f64_e64 s[0:1], v[30:31], v[32:33]
	s_waitcnt lgkmcnt(0)
	v_cmp_gt_i32_e64 s[18:19], v2, v34
	v_cmp_lt_f64_e32 vcc, v[30:31], v[32:33]
	s_and_b64 s[0:1], s[0:1], s[18:19]
	s_or_b64 s[0:1], vcc, s[0:1]
	s_and_b64 exec, exec, s[0:1]
	s_cbranch_execz .LBB20_226
; %bb.225:                              ;   in Loop: Header=BB20_27 Depth=2
	ds_write_b64 v1, v[32:33]
	ds_write_b32 v47, v34 offset:4096
.LBB20_226:                             ;   in Loop: Header=BB20_27 Depth=2
	s_or_b64 exec, exec, s[26:27]
	v_readlane_b32 s14, v64, 32
	v_mov_b64_e32 v[30:31], 0
	v_readlane_b32 s15, v64, 33
	s_and_saveexec_b64 s[0:1], s[14:15]
	s_cbranch_execz .LBB20_230
; %bb.227:                              ;   in Loop: Header=BB20_27 Depth=2
	v_mov_b64_e32 v[30:31], 0
	s_mov_b64 s[18:19], 0
	v_mov_b64_e32 v[32:33], v[8:9]
	v_mov_b32_e32 v2, v0
.LBB20_228:                             ;   Parent Loop BB20_17 Depth=1
                                        ;     Parent Loop BB20_27 Depth=2
                                        ; =>    This Inner Loop Header: Depth=3
	global_load_dwordx2 v[34:35], v[32:33], off
	v_add_u32_e32 v2, 0x100, v2
	v_cmp_ge_u32_e32 vcc, v2, v51
	v_lshl_add_u64 v[32:33], v[32:33], 0, s[86:87]
	s_or_b64 s[18:19], vcc, s[18:19]
	s_waitcnt vmcnt(0)
	v_fmac_f64_e32 v[30:31], v[34:35], v[34:35]
	s_andn2_b64 exec, exec, s[18:19]
	s_cbranch_execnz .LBB20_228
; %bb.229:                              ;   in Loop: Header=BB20_27 Depth=2
	s_or_b64 exec, exec, s[18:19]
.LBB20_230:                             ;   in Loop: Header=BB20_27 Depth=2
	s_or_b64 exec, exec, s[0:1]
	v_add_u32_e32 v2, v47, v46
	ds_write_b64 v2, v[30:31] offset:2048
	s_waitcnt lgkmcnt(0)
	s_barrier
	s_and_saveexec_b64 s[0:1], s[2:3]
	s_cbranch_execz .LBB20_232
; %bb.231:                              ;   in Loop: Header=BB20_27 Depth=2
	ds_read_b64 v[32:33], v2 offset:3072
	s_waitcnt lgkmcnt(0)
	v_add_f64 v[30:31], v[30:31], v[32:33]
.LBB20_232:                             ;   in Loop: Header=BB20_27 Depth=2
	s_or_b64 exec, exec, s[0:1]
	s_barrier
	s_and_saveexec_b64 s[0:1], s[2:3]
; %bb.233:                              ;   in Loop: Header=BB20_27 Depth=2
	ds_write_b64 v2, v[30:31] offset:2048
; %bb.234:                              ;   in Loop: Header=BB20_27 Depth=2
	s_or_b64 exec, exec, s[0:1]
	s_waitcnt lgkmcnt(0)
	s_barrier
	s_and_saveexec_b64 s[0:1], s[4:5]
	s_cbranch_execz .LBB20_236
; %bb.235:                              ;   in Loop: Header=BB20_27 Depth=2
	ds_read2st64_b64 v[30:33], v2 offset0:4 offset1:5
	v_add_u32_e32 v34, 0x800, v2
	s_waitcnt lgkmcnt(0)
	v_add_f64 v[30:31], v[30:31], v[32:33]
	ds_write_b64 v2, v[30:31] offset:2048
	buffer_wbl2 sc1
	s_waitcnt vmcnt(0) lgkmcnt(0)
	buffer_inv sc1
	ds_read2_b64 v[30:33], v34 offset1:32
	s_waitcnt lgkmcnt(0)
	v_add_f64 v[30:31], v[30:31], v[32:33]
	ds_write_b64 v2, v[30:31] offset:2048
	buffer_wbl2 sc1
	s_waitcnt lgkmcnt(0)
	buffer_inv sc1
	ds_read2_b64 v[30:33], v34 offset1:16
	s_waitcnt lgkmcnt(0)
	v_add_f64 v[30:31], v[30:31], v[32:33]
	ds_write_b64 v2, v[30:31] offset:2048
	buffer_wbl2 sc1
	s_waitcnt lgkmcnt(0)
	;; [unrolled: 7-line block ×6, first 2 shown]
	buffer_inv sc1
.LBB20_236:                             ;   in Loop: Header=BB20_27 Depth=2
	s_or_b64 exec, exec, s[0:1]
	s_and_saveexec_b64 s[0:1], s[16:17]
	s_cbranch_execz .LBB20_238
; %bb.237:                              ;   in Loop: Header=BB20_27 Depth=2
	ds_read_b64 v[30:31], v50 offset:2048
	s_mov_b32 s14, 0
	s_brev_b32 s15, 8
	s_waitcnt lgkmcnt(0)
	v_cmp_gt_f64_e32 vcc, s[14:15], v[30:31]
	s_and_b64 s[18:19], vcc, exec
	s_cselect_b32 s11, 0x100, 0
	v_ldexp_f64 v[30:31], v[30:31], s11
	v_rsq_f64_e32 v[32:33], v[30:31]
	s_cselect_b32 s11, 0xffffff80, 0
	v_cmp_class_f64_e32 vcc, v[30:31], v48
	v_mul_f64 v[34:35], v[30:31], v[32:33]
	v_mul_f64 v[32:33], v[32:33], 0.5
	v_fma_f64 v[36:37], -v[32:33], v[34:35], 0.5
	v_fmac_f64_e32 v[34:35], v[34:35], v[36:37]
	v_fmac_f64_e32 v[32:33], v[32:33], v[36:37]
	v_fma_f64 v[36:37], -v[34:35], v[34:35], v[30:31]
	v_fmac_f64_e32 v[34:35], v[36:37], v[32:33]
	v_fma_f64 v[36:37], -v[34:35], v[34:35], v[30:31]
	v_fmac_f64_e32 v[34:35], v[36:37], v[32:33]
	v_ldexp_f64 v[32:33], v[34:35], s11
	v_cndmask_b32_e32 v31, v33, v31, vcc
	v_cndmask_b32_e32 v30, v32, v30, vcc
	ds_write_b64 v50, v[30:31] offset:2048
.LBB20_238:                             ;   in Loop: Header=BB20_27 Depth=2
	s_or_b64 exec, exec, s[0:1]
	s_waitcnt lgkmcnt(0)
	s_barrier
	ds_read_b32 v32, v50 offset:4096
	ds_read_b64 v[30:31], v50 offset:2048
	s_waitcnt lgkmcnt(1)
	v_ashrrev_i32_e32 v33, 31, v32
	v_lshlrev_b64 v[32:33], 3, v[32:33]
	v_lshl_add_u64 v[32:33], s[20:21], 0, v[32:33]
	global_load_dwordx2 v[32:33], v[32:33], off offset:-8
	s_waitcnt lgkmcnt(0)
	s_barrier
	s_and_saveexec_b64 s[0:1], s[8:9]
	s_cbranch_execz .LBB20_241
; %bb.239:                              ;   in Loop: Header=BB20_27 Depth=2
	s_waitcnt vmcnt(0)
	v_cmp_nle_f64_e32 vcc, 0, v[32:33]
	s_and_b64 s[18:19], vcc, exec
	s_mov_b32 s11, 0xbff00000
	s_cselect_b32 s19, s11, 0x3ff00000
	s_mov_b32 s18, s39
	v_div_scale_f64 v[32:33], s[26:27], v[30:31], v[30:31], s[18:19]
	v_rcp_f64_e32 v[34:35], v[32:33]
	v_mov_b32_e32 v2, v0
	v_fma_f64 v[36:37], -v[32:33], v[34:35], 1.0
	v_fmac_f64_e32 v[34:35], v[34:35], v[36:37]
	v_fma_f64 v[36:37], -v[32:33], v[34:35], 1.0
	v_fmac_f64_e32 v[34:35], v[34:35], v[36:37]
	v_div_scale_f64 v[36:37], vcc, s[18:19], v[30:31], s[18:19]
	v_mul_f64 v[38:39], v[36:37], v[34:35]
	v_fma_f64 v[32:33], -v[32:33], v[38:39], v[36:37]
	s_nop 1
	v_div_fmas_f64 v[32:33], v[32:33], v[34:35], v[38:39]
	v_div_fixup_f64 v[30:31], v[32:33], v[30:31], s[18:19]
	s_mov_b64 s[18:19], 0
	v_mov_b64_e32 v[32:33], v[8:9]
.LBB20_240:                             ;   Parent Loop BB20_17 Depth=1
                                        ;     Parent Loop BB20_27 Depth=2
                                        ; =>    This Inner Loop Header: Depth=3
	global_load_dwordx2 v[34:35], v[32:33], off
	v_add_u32_e32 v2, 0x100, v2
	v_cmp_lt_i32_e32 vcc, s96, v2
	s_or_b64 s[18:19], vcc, s[18:19]
	s_waitcnt vmcnt(0)
	v_mul_f64 v[34:35], v[30:31], v[34:35]
	global_store_dwordx2 v[32:33], v[34:35], off
	v_lshl_add_u64 v[32:33], v[32:33], 0, s[86:87]
	s_andn2_b64 exec, exec, s[18:19]
	s_cbranch_execnz .LBB20_240
.LBB20_241:                             ;   in Loop: Header=BB20_27 Depth=2
	s_or_b64 exec, exec, s[0:1]
	s_barrier
	v_mov_b64_e32 v[30:31], v[28:29]
	s_and_saveexec_b64 s[18:19], s[6:7]
	s_cbranch_execz .LBB20_26
.LBB20_242:                             ;   in Loop: Header=BB20_27 Depth=2
	s_mov_b64 s[26:27], 0
	v_mov_b32_e32 v28, v0
	s_branch .LBB20_244
.LBB20_243:                             ;   in Loop: Header=BB20_244 Depth=3
	s_or_b64 exec, exec, s[0:1]
	v_add_u32_e32 v34, s10, v28
	v_add_u32_e32 v28, 0x100, v28
	v_ashrrev_i32_e32 v35, 31, v34
	v_cmp_le_i32_e32 vcc, s24, v28
	v_lshl_add_u64 v[34:35], v[34:35], 3, s[28:29]
	s_or_b64 s[26:27], vcc, s[26:27]
	s_waitcnt vmcnt(0)
	global_store_dwordx2 v[34:35], v[32:33], off
	s_andn2_b64 exec, exec, s[26:27]
	s_cbranch_execz .LBB20_26
.LBB20_244:                             ;   Parent Loop BB20_17 Depth=1
                                        ;     Parent Loop BB20_27 Depth=2
                                        ; =>    This Inner Loop Header: Depth=3
	v_cmp_le_i32_e32 vcc, s92, v28
	v_cmp_gt_i32_e64 s[0:1], s94, v28
	s_and_b64 s[30:31], vcc, s[0:1]
	s_waitcnt vmcnt(0)
	v_mov_b64_e32 v[32:33], 0
	s_and_saveexec_b64 s[0:1], s[30:31]
	s_cbranch_execz .LBB20_243
; %bb.245:                              ;   in Loop: Header=BB20_244 Depth=3
	v_add_u32_e32 v2, s95, v28
	v_lshl_add_u64 v[32:33], v[2:3], 3, s[20:21]
	global_load_dwordx2 v[32:33], v[32:33], off
	s_branch .LBB20_243
.LBB20_246:
	s_and_saveexec_b64 s[0:1], s[16:17]
	s_cbranch_execz .LBB20_248
; %bb.247:
	v_mov_b32_e32 v0, 0
	ds_read_b32 v1, v0
	v_readlane_b32 s0, v64, 0
	v_readlane_b32 s1, v64, 1
	s_add_u32 s0, s42, s0
	s_addc_u32 s1, s43, s1
	s_waitcnt lgkmcnt(0)
	s_nop 1
	global_store_dword v0, v1, s[0:1]
.LBB20_248:
	s_endpgm
	.section	.rodata,"a",@progbits
	.p2align	6, 0x0
	.amdhsa_kernel _ZN9rocsolver6v33100L12stein_kernelIddPdEEviPT0_lS4_lPiS4_lS5_lS5_lT1_iilS5_lS5_S4_S5_S3_S3_
		.amdhsa_group_segment_fixed_size 8
		.amdhsa_private_segment_fixed_size 0
		.amdhsa_kernarg_size 176
		.amdhsa_user_sgpr_count 2
		.amdhsa_user_sgpr_dispatch_ptr 0
		.amdhsa_user_sgpr_queue_ptr 0
		.amdhsa_user_sgpr_kernarg_segment_ptr 1
		.amdhsa_user_sgpr_dispatch_id 0
		.amdhsa_user_sgpr_kernarg_preload_length 0
		.amdhsa_user_sgpr_kernarg_preload_offset 0
		.amdhsa_user_sgpr_private_segment_size 0
		.amdhsa_uses_dynamic_stack 0
		.amdhsa_enable_private_segment 0
		.amdhsa_system_sgpr_workgroup_id_x 1
		.amdhsa_system_sgpr_workgroup_id_y 1
		.amdhsa_system_sgpr_workgroup_id_z 0
		.amdhsa_system_sgpr_workgroup_info 0
		.amdhsa_system_vgpr_workitem_id 0
		.amdhsa_next_free_vgpr 65
		.amdhsa_next_free_sgpr 100
		.amdhsa_accum_offset 68
		.amdhsa_reserve_vcc 1
		.amdhsa_float_round_mode_32 0
		.amdhsa_float_round_mode_16_64 0
		.amdhsa_float_denorm_mode_32 3
		.amdhsa_float_denorm_mode_16_64 3
		.amdhsa_dx10_clamp 1
		.amdhsa_ieee_mode 1
		.amdhsa_fp16_overflow 0
		.amdhsa_tg_split 0
		.amdhsa_exception_fp_ieee_invalid_op 0
		.amdhsa_exception_fp_denorm_src 0
		.amdhsa_exception_fp_ieee_div_zero 0
		.amdhsa_exception_fp_ieee_overflow 0
		.amdhsa_exception_fp_ieee_underflow 0
		.amdhsa_exception_fp_ieee_inexact 0
		.amdhsa_exception_int_div_zero 0
	.end_amdhsa_kernel
	.section	.text._ZN9rocsolver6v33100L12stein_kernelIddPdEEviPT0_lS4_lPiS4_lS5_lS5_lT1_iilS5_lS5_S4_S5_S3_S3_,"axG",@progbits,_ZN9rocsolver6v33100L12stein_kernelIddPdEEviPT0_lS4_lPiS4_lS5_lS5_lT1_iilS5_lS5_S4_S5_S3_S3_,comdat
.Lfunc_end20:
	.size	_ZN9rocsolver6v33100L12stein_kernelIddPdEEviPT0_lS4_lPiS4_lS5_lS5_lT1_iilS5_lS5_S4_S5_S3_S3_, .Lfunc_end20-_ZN9rocsolver6v33100L12stein_kernelIddPdEEviPT0_lS4_lPiS4_lS5_lS5_lT1_iilS5_lS5_S4_S5_S3_S3_
                                        ; -- End function
	.set _ZN9rocsolver6v33100L12stein_kernelIddPdEEviPT0_lS4_lPiS4_lS5_lS5_lT1_iilS5_lS5_S4_S5_S3_S3_.num_vgpr, 65
	.set _ZN9rocsolver6v33100L12stein_kernelIddPdEEviPT0_lS4_lPiS4_lS5_lS5_lT1_iilS5_lS5_S4_S5_S3_S3_.num_agpr, 0
	.set _ZN9rocsolver6v33100L12stein_kernelIddPdEEviPT0_lS4_lPiS4_lS5_lS5_lT1_iilS5_lS5_S4_S5_S3_S3_.numbered_sgpr, 100
	.set _ZN9rocsolver6v33100L12stein_kernelIddPdEEviPT0_lS4_lPiS4_lS5_lS5_lT1_iilS5_lS5_S4_S5_S3_S3_.num_named_barrier, 0
	.set _ZN9rocsolver6v33100L12stein_kernelIddPdEEviPT0_lS4_lPiS4_lS5_lS5_lT1_iilS5_lS5_S4_S5_S3_S3_.private_seg_size, 0
	.set _ZN9rocsolver6v33100L12stein_kernelIddPdEEviPT0_lS4_lPiS4_lS5_lS5_lT1_iilS5_lS5_S4_S5_S3_S3_.uses_vcc, 1
	.set _ZN9rocsolver6v33100L12stein_kernelIddPdEEviPT0_lS4_lPiS4_lS5_lS5_lT1_iilS5_lS5_S4_S5_S3_S3_.uses_flat_scratch, 0
	.set _ZN9rocsolver6v33100L12stein_kernelIddPdEEviPT0_lS4_lPiS4_lS5_lS5_lT1_iilS5_lS5_S4_S5_S3_S3_.has_dyn_sized_stack, 0
	.set _ZN9rocsolver6v33100L12stein_kernelIddPdEEviPT0_lS4_lPiS4_lS5_lS5_lT1_iilS5_lS5_S4_S5_S3_S3_.has_recursion, 0
	.set _ZN9rocsolver6v33100L12stein_kernelIddPdEEviPT0_lS4_lPiS4_lS5_lS5_lT1_iilS5_lS5_S4_S5_S3_S3_.has_indirect_call, 0
	.section	.AMDGPU.csdata,"",@progbits
; Kernel info:
; codeLenInByte = 10564
; TotalNumSgprs: 106
; NumVgprs: 65
; NumAgprs: 0
; TotalNumVgprs: 65
; ScratchSize: 0
; MemoryBound: 1
; FloatMode: 240
; IeeeMode: 1
; LDSByteSize: 8 bytes/workgroup (compile time only)
; SGPRBlocks: 13
; VGPRBlocks: 8
; NumSGPRsForWavesPerEU: 106
; NumVGPRsForWavesPerEU: 65
; AccumOffset: 68
; Occupancy: 7
; WaveLimiterHint : 1
; COMPUTE_PGM_RSRC2:SCRATCH_EN: 0
; COMPUTE_PGM_RSRC2:USER_SGPR: 2
; COMPUTE_PGM_RSRC2:TRAP_HANDLER: 0
; COMPUTE_PGM_RSRC2:TGID_X_EN: 1
; COMPUTE_PGM_RSRC2:TGID_Y_EN: 1
; COMPUTE_PGM_RSRC2:TGID_Z_EN: 0
; COMPUTE_PGM_RSRC2:TIDIG_COMP_CNT: 0
; COMPUTE_PGM_RSRC3_GFX90A:ACCUM_OFFSET: 16
; COMPUTE_PGM_RSRC3_GFX90A:TG_SPLIT: 0
	.section	.text._ZN9rocsolver6v33100L15syevx_sort_eigsIddPdEEviPiPT0_lT1_iilS3_lS3_S3_,"axG",@progbits,_ZN9rocsolver6v33100L15syevx_sort_eigsIddPdEEviPiPT0_lT1_iilS3_lS3_S3_,comdat
	.globl	_ZN9rocsolver6v33100L15syevx_sort_eigsIddPdEEviPiPT0_lT1_iilS3_lS3_S3_ ; -- Begin function _ZN9rocsolver6v33100L15syevx_sort_eigsIddPdEEviPiPT0_lT1_iilS3_lS3_S3_
	.p2align	8
	.type	_ZN9rocsolver6v33100L15syevx_sort_eigsIddPdEEviPiPT0_lT1_iilS3_lS3_S3_,@function
_ZN9rocsolver6v33100L15syevx_sort_eigsIddPdEEviPiPT0_lT1_iilS3_lS3_S3_: ; @_ZN9rocsolver6v33100L15syevx_sort_eigsIddPdEEviPiPT0_lT1_iilS3_lS3_S3_
; %bb.0:
	s_mov_b64 s[22:23], s[0:1]
	s_load_dwordx8 s[36:43], s[0:1], 0x8
	s_load_dwordx8 s[44:51], s[0:1], 0x30
	s_nop 0
	s_load_dwordx2 s[0:1], s[0:1], 0x50
	s_mov_b32 s28, s3
	s_mov_b32 s29, 0
	s_lshl_b64 s[2:3], s[28:29], 2
	s_waitcnt lgkmcnt(0)
	s_add_u32 s4, s36, s2
	s_addc_u32 s5, s37, s3
	s_load_dword s29, s[4:5], 0x0
	s_add_u32 s2, s50, s2
	s_addc_u32 s3, s51, s3
	s_mov_b64 s[34:35], 0
	s_cmp_eq_u64 s[46:47], 0
	s_mov_b64 s[26:27], 0
	s_mov_b32 s32, 0
	s_cbranch_scc1 .LBB21_2
; %bb.1:
	s_mul_i32 s4, s49, s28
	s_mul_hi_u32 s5, s48, s28
	s_add_i32 s5, s5, s4
	s_mul_i32 s4, s48, s28
	s_lshl_b64 s[4:5], s[4:5], 2
	s_add_u32 s26, s46, s4
	s_addc_u32 s27, s47, s5
.LBB21_2:
	s_load_dword s48, s[22:23], 0x0
	s_mov_b64 s[4:5], -1
	s_waitcnt lgkmcnt(0)
	s_cmp_le_i32 s29, s48
	s_cbranch_scc1 .LBB21_6
; %bb.3:
	s_and_b64 vcc, exec, s[4:5]
	s_cbranch_vccnz .LBB21_80
.LBB21_4:
	s_and_saveexec_b64 s[0:1], s[34:35]
	s_cbranch_execnz .LBB21_81
.LBB21_5:
	s_endpgm
.LBB21_6:
	s_cmp_lg_u64 s[0:1], 0
	s_mov_b64 s[46:47], 0
	s_cbranch_scc0 .LBB21_28
; %bb.7:
	s_load_dwordx2 s[4:5], s[22:23], 0x64
	s_load_dword s49, s[2:3], 0x0
	s_mul_i32 s2, s48, s28
	s_mov_b32 s3, 0
	s_lshl_b64 s[2:3], s[2:3], 2
	s_waitcnt lgkmcnt(0)
	s_and_b32 s5, s5, 0xffff
	s_lshr_b32 s6, s4, 16
	s_and_b32 s7, s4, 0xffff
	s_and_b32 s8, s5, 0xffff
	s_add_u32 s24, s0, s2
	s_addc_u32 s25, s1, s3
	s_cmp_gt_i32 s29, 0
	s_cselect_b64 s[2:3], -1, 0
	s_cmp_lg_u64 s[38:39], 0
	s_cselect_b64 s[4:5], -1, 0
	s_and_b64 s[2:3], s[4:5], s[2:3]
	v_bfe_u32 v2, v0, 10, 10
	v_bfe_u32 v3, v0, 20, 10
	s_mul_i32 s21, s6, s7
	v_and_b32_e32 v41, 0x3ff, v0
	s_and_b64 vcc, exec, s[2:3]
	v_mul_u32_u24_e32 v43, s7, v2
	v_mul_lo_u32 v44, s21, v3
	s_mul_i32 s21, s21, s8
	s_barrier
	s_cbranch_vccz .LBB21_29
; %bb.8:
	v_add3_u32 v42, v43, v41, v44
	s_cmp_lg_u64 s[0:1], 0
	s_cselect_b64 s[0:1], -1, 0
	v_cmp_gt_u32_e32 vcc, s29, v42
	s_mov_b64 s[2:3], 0
	s_and_b64 s[6:7], s[0:1], vcc
	s_barrier
	s_and_saveexec_b64 s[4:5], s[6:7]
	s_cbranch_execz .LBB21_11
; %bb.9:
	v_mov_b32_e32 v1, 0
	v_mov_b32_e32 v0, v42
.LBB21_10:                              ; =>This Inner Loop Header: Depth=1
	v_lshl_add_u64 v[4:5], v[0:1], 2, s[24:25]
	global_store_dword v[4:5], v0, off
	v_add_u32_e32 v0, s21, v0
	v_cmp_le_u32_e32 vcc, s29, v0
	s_or_b64 s[2:3], vcc, s[2:3]
	s_andn2_b64 exec, exec, s[2:3]
	s_cbranch_execnz .LBB21_10
.LBB21_11:
	s_or_b64 exec, exec, s[4:5]
	s_mul_i32 s2, s41, s28
	s_mul_hi_u32 s3, s40, s28
	s_add_i32 s3, s3, s2
	s_mul_i32 s2, s40, s28
	s_lshl_b64 s[2:3], s[2:3], 3
	v_or3_b32 v0, v2, v3, v41
	s_add_u32 s2, s38, s2
	s_mov_b32 s5, 0
	v_cmp_eq_u32_e32 vcc, 0, v0
	s_addc_u32 s3, s39, s3
	s_barrier
	s_and_saveexec_b64 s[6:7], vcc
	s_cbranch_execz .LBB21_30
; %bb.12:
	v_cndmask_b32_e64 v0, 0, 1, s[0:1]
	v_mov_b32_e32 v4, 0
	v_cmp_ne_u32_e64 s[0:1], 1, v0
	s_mov_b32 s8, s5
	s_branch .LBB21_14
.LBB21_13:                              ;   in Loop: Header=BB21_14 Depth=1
	s_add_i32 s8, s8, 1
	s_cmp_eq_u32 s8, 8
	s_cbranch_scc1 .LBB21_30
.LBB21_14:                              ; =>This Loop Header: Depth=1
                                        ;     Child Loop BB21_17 Depth 2
                                        ;       Child Loop BB21_21 Depth 3
	s_mov_b32 s9, s5
	s_lshl_b64 s[10:11], s[8:9], 2
	s_getpc_b64 s[12:13]
	s_add_u32 s12, s12, __const._ZN9rocsolver6v33100L20shell_sort_ascendingIdiEEvT0_PT_PS2_.gaps@rel32@lo+4
	s_addc_u32 s13, s13, __const._ZN9rocsolver6v33100L20shell_sort_ascendingIdiEEvT0_PT_PS2_.gaps@rel32@hi+12
	s_add_u32 s10, s12, s10
	s_addc_u32 s11, s13, s11
	s_load_dword s9, s[10:11], 0x0
	s_waitcnt lgkmcnt(0)
	s_cmp_ge_i32 s9, s29
	s_cbranch_scc1 .LBB21_13
; %bb.15:                               ;   in Loop: Header=BB21_14 Depth=1
	s_mov_b32 s16, 0
	s_mov_b32 s10, s9
	s_branch .LBB21_17
.LBB21_16:                              ;   in Loop: Header=BB21_17 Depth=2
	s_add_i32 s10, s10, 1
	s_add_i32 s16, s16, 1
	s_cmp_ge_i32 s10, s29
	s_cbranch_scc1 .LBB21_13
.LBB21_17:                              ;   Parent Loop BB21_14 Depth=1
                                        ; =>  This Loop Header: Depth=2
                                        ;       Child Loop BB21_21 Depth 3
	s_ashr_i32 s11, s10, 31
	s_lshl_b64 s[12:13], s[10:11], 3
	s_add_u32 s12, s2, s12
	s_addc_u32 s13, s3, s13
	global_load_dwordx2 v[0:1], v4, s[12:13]
	s_and_b64 vcc, exec, s[0:1]
	s_cbranch_vccnz .LBB21_19
; %bb.18:                               ;   in Loop: Header=BB21_17 Depth=2
	s_lshl_b64 s[12:13], s[10:11], 2
	s_add_u32 s12, s24, s12
	s_addc_u32 s13, s25, s13
	global_load_dword v5, v4, s[12:13]
	s_cmp_lt_i32 s10, s9
	s_mov_b64 s[12:13], s[10:11]
	s_mov_b32 s4, s16
	s_cbranch_scc0 .LBB21_21
	s_branch .LBB21_26
.LBB21_19:                              ;   in Loop: Header=BB21_17 Depth=2
	v_mov_b32_e32 v5, 0
	s_cmp_lt_i32 s10, s9
	s_mov_b64 s[12:13], s[10:11]
	s_mov_b32 s4, s16
	s_cbranch_scc0 .LBB21_21
	s_branch .LBB21_26
.LBB21_20:                              ;   in Loop: Header=BB21_21 Depth=3
                                        ; implicit-def: $sgpr11
	s_and_b64 vcc, exec, s[14:15]
	s_mov_b32 s4, s11
	s_cbranch_vccnz .LBB21_25
.LBB21_21:                              ;   Parent Loop BB21_14 Depth=1
                                        ;     Parent Loop BB21_17 Depth=2
                                        ; =>    This Inner Loop Header: Depth=3
	s_add_i32 s12, s9, s4
	s_lshl_b64 s[14:15], s[4:5], 3
	s_add_u32 s14, s2, s14
	s_addc_u32 s15, s3, s15
	global_load_dwordx2 v[2:3], v4, s[14:15]
	s_mov_b64 s[14:15], -1
	s_waitcnt vmcnt(0)
	v_cmp_ngt_f64_e32 vcc, v[2:3], v[0:1]
	s_cbranch_vccnz .LBB21_20
; %bb.22:                               ;   in Loop: Header=BB21_21 Depth=3
	s_ashr_i32 s13, s12, 31
	s_lshl_b64 s[14:15], s[12:13], 3
	s_add_u32 s14, s2, s14
	s_addc_u32 s15, s3, s15
	s_and_b64 vcc, exec, s[0:1]
	global_store_dwordx2 v4, v[2:3], s[14:15]
	s_cbranch_vccnz .LBB21_24
; %bb.23:                               ;   in Loop: Header=BB21_21 Depth=3
	s_lshl_b64 s[12:13], s[12:13], 2
	s_add_u32 s12, s24, s12
	s_addc_u32 s13, s25, s13
	s_lshl_b64 s[14:15], s[4:5], 2
	s_add_u32 s14, s24, s14
	s_addc_u32 s15, s25, s15
	global_load_dword v2, v4, s[14:15]
	s_waitcnt vmcnt(0)
	global_store_dword v4, v2, s[12:13]
.LBB21_24:                              ;   in Loop: Header=BB21_21 Depth=3
	s_sub_i32 s11, s4, s9
	s_cmp_lt_i32 s4, s9
	s_cselect_b64 s[14:15], -1, 0
	s_mov_b32 s12, s4
	s_and_b64 vcc, exec, s[14:15]
	s_mov_b32 s4, s11
	s_cbranch_vccz .LBB21_21
.LBB21_25:                              ;   in Loop: Header=BB21_17 Depth=2
	s_ashr_i32 s13, s12, 31
.LBB21_26:                              ;   in Loop: Header=BB21_17 Depth=2
	s_lshl_b64 s[14:15], s[12:13], 3
	s_add_u32 s14, s2, s14
	s_addc_u32 s15, s3, s15
	s_and_b64 vcc, exec, s[0:1]
	s_waitcnt vmcnt(0)
	global_store_dwordx2 v4, v[0:1], s[14:15]
	s_cbranch_vccnz .LBB21_16
; %bb.27:                               ;   in Loop: Header=BB21_17 Depth=2
	s_lshl_b64 s[12:13], s[12:13], 2
	s_add_u32 s12, s24, s12
	s_addc_u32 s13, s25, s13
	global_store_dword v4, v5, s[12:13]
	s_branch .LBB21_16
.LBB21_28:
	s_cbranch_execnz .LBB21_78
	s_branch .LBB21_79
.LBB21_29:
                                        ; implicit-def: $vgpr42
                                        ; implicit-def: $vgpr4
	s_cbranch_execnz .LBB21_45
	s_branch .LBB21_46
.LBB21_30:
	s_or_b64 exec, exec, s[6:7]
	s_cmp_lt_u32 s29, 2
	s_cselect_b64 s[6:7], -1, 0
	s_mov_b64 s[46:47], 0
	s_and_b64 vcc, exec, s[6:7]
	s_barrier
	s_cbranch_vccnz .LBB21_38
; %bb.31:
	s_add_i32 s16, s29, -1
	v_cmp_gt_u32_e32 vcc, s16, v42
	s_mov_b64 s[6:7], -1
	s_mov_b64 s[0:1], 0
	s_and_saveexec_b64 s[4:5], vcc
	s_cbranch_execz .LBB21_40
; %bb.32:
	s_mov_b64 s[6:7], 0
	v_mov_b32_e32 v1, 0
	v_mov_b32_e32 v0, v42
                                        ; implicit-def: $sgpr8_sgpr9
	s_branch .LBB21_34
.LBB21_33:                              ;   in Loop: Header=BB21_34 Depth=1
	s_or_b64 exec, exec, s[14:15]
	s_xor_b64 s[10:11], s[12:13], -1
	s_and_b64 s[0:1], exec, s[0:1]
	s_or_b64 s[6:7], s[0:1], s[6:7]
	s_andn2_b64 s[0:1], s[8:9], exec
	s_and_b64 s[8:9], s[10:11], exec
	s_or_b64 s[8:9], s[0:1], s[8:9]
	s_andn2_b64 exec, exec, s[6:7]
	s_cbranch_execz .LBB21_39
.LBB21_34:                              ; =>This Inner Loop Header: Depth=1
	v_lshl_add_u64 v[4:5], v[0:1], 3, s[2:3]
	global_load_dwordx2 v[2:3], v[4:5], off
	s_waitcnt vmcnt(0)
	v_cmp_u_f64_e64 s[10:11], v[2:3], v[2:3]
	v_cmp_o_f64_e32 vcc, v[2:3], v[2:3]
	s_and_saveexec_b64 s[12:13], vcc
	s_cbranch_execz .LBB21_36
; %bb.35:                               ;   in Loop: Header=BB21_34 Depth=1
	global_load_dwordx2 v[4:5], v[4:5], off offset:8
	s_andn2_b64 s[10:11], s[10:11], exec
	s_waitcnt vmcnt(0)
	v_cmp_u_f64_e32 vcc, v[4:5], v[4:5]
	v_cmp_le_f64_e64 s[0:1], v[2:3], v[4:5]
	s_or_b64 s[0:1], vcc, s[0:1]
	s_and_b64 s[0:1], s[0:1], exec
	s_or_b64 s[10:11], s[10:11], s[0:1]
.LBB21_36:                              ;   in Loop: Header=BB21_34 Depth=1
	s_or_b64 exec, exec, s[12:13]
	s_mov_b64 s[0:1], -1
	s_mov_b64 s[12:13], -1
	s_and_saveexec_b64 s[14:15], s[10:11]
	s_cbranch_execz .LBB21_33
; %bb.37:                               ;   in Loop: Header=BB21_34 Depth=1
	v_add_u32_e32 v0, s21, v0
	v_cmp_le_u32_e32 vcc, s16, v0
	s_xor_b64 s[12:13], exec, -1
	s_orn2_b64 s[0:1], vcc, exec
	s_branch .LBB21_33
.LBB21_38:
	s_mov_b64 s[0:1], 0
	s_and_saveexec_b64 s[2:3], s[6:7]
	s_cbranch_execnz .LBB21_41
	s_branch .LBB21_42
.LBB21_39:
	s_or_b64 exec, exec, s[6:7]
	s_mov_b64 s[0:1], exec
	s_orn2_b64 s[6:7], s[8:9], exec
.LBB21_40:
	s_or_b64 exec, exec, s[4:5]
	s_and_saveexec_b64 s[2:3], s[6:7]
	s_cbranch_execz .LBB21_42
.LBB21_41:
	s_mov_b64 s[46:47], exec
	s_barrier
	s_andn2_b64 s[0:1], s[0:1], exec
.LBB21_42:
	s_or_b64 exec, exec, s[2:3]
	s_mov_b64 s[36:37], 0
	s_mov_b64 s[34:35], 0
	s_and_saveexec_b64 s[2:3], s[0:1]
	s_xor_b64 s[38:39], exec, s[2:3]
	s_cbranch_execz .LBB21_44
; %bb.43:
	s_add_u32 s8, s22, 0x58
	s_addc_u32 s9, s23, 0
	s_getpc_b64 s[0:1]
	s_add_u32 s0, s0, .str.7@rel32@lo+4
	s_addc_u32 s1, s1, .str.7@rel32@hi+12
	s_getpc_b64 s[2:3]
	s_add_u32 s2, s2, .str.8@rel32@lo+4
	s_addc_u32 s3, s3, .str.8@rel32@hi+12
	s_getpc_b64 s[4:5]
	s_add_u32 s4, s4, __PRETTY_FUNCTION__._ZN9rocsolver6v33100L20shell_sort_ascendingIdiEEvT0_PT_PS2_@rel32@lo+4
	s_addc_u32 s5, s5, __PRETTY_FUNCTION__._ZN9rocsolver6v33100L20shell_sort_ascendingIdiEEvT0_PT_PS2_@rel32@hi+12
	s_getpc_b64 s[6:7]
	s_add_u32 s6, s6, __assert_fail@rel32@lo+4
	s_addc_u32 s7, s7, __assert_fail@rel32@hi+12
	v_mov_b32_e32 v0, s0
	v_mov_b32_e32 v1, s1
	;; [unrolled: 1-line block ×7, first 2 shown]
	s_swappc_b64 s[30:31], s[6:7]
	s_mov_b64 s[34:35], exec
.LBB21_44:
	s_or_b64 exec, exec, s[38:39]
	v_mov_b32_e32 v4, s21
	s_and_b64 vcc, exec, s[36:37]
	s_cbranch_vccz .LBB21_46
.LBB21_45:
	v_add3_u32 v42, v43, v41, v44
	v_mov_b32_e32 v4, s21
	s_or_b64 s[46:47], s[46:47], exec
.LBB21_46:
	s_and_saveexec_b64 s[36:37], s[46:47]
	s_cbranch_execz .LBB21_77
; %bb.47:
	s_cmp_lt_i32 s29, 1
	s_barrier
	s_cbranch_scc1 .LBB21_66
; %bb.48:
	s_load_dwordx2 s[4:5], s[22:23], 0x28
	s_mul_i32 s6, s45, s28
	s_mul_i32 s8, s44, s28
	s_mov_b32 s7, 0
	v_cmp_eq_u32_e64 s[0:1], 0, v42
	s_waitcnt lgkmcnt(0)
	s_ashr_i32 s3, s4, 31
	s_mov_b32 s2, s4
	s_mul_hi_u32 s4, s44, s28
	s_add_i32 s9, s4, s6
	s_lshl_b64 s[8:9], s[8:9], 3
	s_add_u32 s4, s42, s8
	s_addc_u32 s6, s43, s9
	s_lshl_b64 s[2:3], s[2:3], 3
	s_add_u32 s28, s4, s2
	s_addc_u32 s30, s6, s3
	s_cmp_lg_u64 s[26:27], 0
	v_cmp_gt_i32_e64 s[2:3], s48, v42
	s_mov_b32 s31, s5
	s_cselect_b64 s[8:9], -1, 0
	v_cmp_gt_i32_e64 s[4:5], s49, v42
	v_mov_b32_e32 v5, 0
	s_mov_b32 s6, s7
	s_branch .LBB21_50
.LBB21_49:                              ;   in Loop: Header=BB21_50 Depth=1
	s_add_i32 s6, s6, 1
	s_cmp_eq_u32 s6, s29
	s_cbranch_scc1 .LBB21_66
.LBB21_50:                              ; =>This Loop Header: Depth=1
                                        ;     Child Loop BB21_53 Depth 2
                                        ;       Child Loop BB21_57 Depth 3
                                        ;       Child Loop BB21_62 Depth 3
	s_lshl_b64 s[10:11], s[6:7], 2
	s_add_u32 s10, s24, s10
	s_addc_u32 s11, s25, s11
	s_barrier
	global_load_dword v0, v5, s[10:11]
	s_waitcnt vmcnt(0)
	v_cmp_eq_u32_e32 vcc, s6, v0
	v_readfirstlane_b32 s12, v0
	s_cbranch_vccz .LBB21_53
	s_branch .LBB21_49
.LBB21_51:                              ;   in Loop: Header=BB21_53 Depth=2
	s_or_b64 exec, exec, s[14:15]
	s_barrier
.LBB21_52:                              ;   in Loop: Header=BB21_53 Depth=2
	global_load_dword v0, v5, s[10:11]
	s_waitcnt vmcnt(0)
	v_cmp_ne_u32_e32 vcc, s6, v0
	v_readfirstlane_b32 s12, v0
	s_cbranch_vccz .LBB21_49
.LBB21_53:                              ;   Parent Loop BB21_50 Depth=1
                                        ; =>  This Loop Header: Depth=2
                                        ;       Child Loop BB21_57 Depth 3
                                        ;       Child Loop BB21_62 Depth 3
	s_ashr_i32 s13, s12, 31
	s_lshl_b64 s[14:15], s[12:13], 2
	s_add_u32 s14, s24, s14
	s_addc_u32 s15, s25, s15
	global_load_dword v0, v5, s[14:15]
	s_barrier
	s_waitcnt vmcnt(0)
	v_readfirstlane_b32 s13, v0
	s_and_saveexec_b64 s[16:17], s[0:1]
	s_cbranch_execz .LBB21_55
; %bb.54:                               ;   in Loop: Header=BB21_53 Depth=2
	v_mov_b32_e32 v0, s12
	global_store_dword v5, v0, s[14:15]
	v_mov_b32_e32 v0, s13
	global_store_dword v5, v0, s[10:11]
.LBB21_55:                              ;   in Loop: Header=BB21_53 Depth=2
	s_or_b64 exec, exec, s[16:17]
	s_barrier
	s_barrier
	s_and_saveexec_b64 s[14:15], s[2:3]
	s_cbranch_execz .LBB21_58
; %bb.56:                               ;   in Loop: Header=BB21_53 Depth=2
	s_mul_hi_i32 s17, s12, s31
	s_mul_i32 s16, s12, s31
	s_lshl_b64 s[16:17], s[16:17], 3
	s_mul_hi_i32 s19, s13, s31
	s_mul_i32 s18, s13, s31
	s_add_u32 s16, s28, s16
	s_addc_u32 s17, s30, s17
	s_lshl_b64 s[18:19], s[18:19], 3
	s_add_u32 s18, s28, s18
	s_addc_u32 s19, s30, s19
	s_mov_b64 s[20:21], 0
	v_mov_b32_e32 v0, v42
.LBB21_57:                              ;   Parent Loop BB21_50 Depth=1
                                        ;     Parent Loop BB21_53 Depth=2
                                        ; =>    This Inner Loop Header: Depth=3
	v_ashrrev_i32_e32 v1, 31, v0
	v_lshlrev_b64 v[2:3], 3, v[0:1]
	v_lshl_add_u64 v[6:7], s[16:17], 0, v[2:3]
	v_lshl_add_u64 v[2:3], s[18:19], 0, v[2:3]
	global_load_dwordx2 v[8:9], v[2:3], off
	global_load_dwordx2 v[10:11], v[6:7], off
	v_add_u32_e32 v0, v0, v4
	v_cmp_le_i32_e32 vcc, s48, v0
	s_or_b64 s[20:21], vcc, s[20:21]
	s_waitcnt vmcnt(1)
	global_store_dwordx2 v[6:7], v[8:9], off
	s_waitcnt vmcnt(1)
	global_store_dwordx2 v[2:3], v[10:11], off
	s_andn2_b64 exec, exec, s[20:21]
	s_cbranch_execnz .LBB21_57
.LBB21_58:                              ;   in Loop: Header=BB21_53 Depth=2
	s_or_b64 exec, exec, s[14:15]
	s_and_b64 vcc, exec, s[8:9]
	s_barrier
	s_cbranch_vccz .LBB21_52
; %bb.59:                               ;   in Loop: Header=BB21_53 Depth=2
	s_barrier
	s_and_saveexec_b64 s[14:15], s[4:5]
	s_cbranch_execz .LBB21_51
; %bb.60:                               ;   in Loop: Header=BB21_53 Depth=2
	s_add_i32 s20, s12, 1
	s_add_i32 s21, s13, 1
	s_mov_b64 s[12:13], 0
	v_mov_b32_e32 v0, v42
	s_branch .LBB21_62
.LBB21_61:                              ;   in Loop: Header=BB21_62 Depth=3
	s_or_b64 exec, exec, s[18:19]
	v_add_u32_e32 v0, v0, v4
	v_cmp_le_i32_e32 vcc, s49, v0
	s_or_b64 s[12:13], vcc, s[12:13]
	s_andn2_b64 exec, exec, s[12:13]
	s_cbranch_execz .LBB21_51
.LBB21_62:                              ;   Parent Loop BB21_50 Depth=1
                                        ;     Parent Loop BB21_53 Depth=2
                                        ; =>    This Inner Loop Header: Depth=3
	v_ashrrev_i32_e32 v1, 31, v0
	v_lshl_add_u64 v[2:3], v[0:1], 2, s[26:27]
	global_load_dword v1, v[2:3], off
	v_mov_b32_e32 v6, s21
	s_waitcnt vmcnt(0)
	v_cmp_eq_u32_e64 s[16:17], s20, v1
	v_cmp_ne_u32_e32 vcc, s20, v1
	s_and_saveexec_b64 s[18:19], vcc
; %bb.63:                               ;   in Loop: Header=BB21_62 Depth=3
	v_cmp_eq_u32_e32 vcc, s21, v1
	s_andn2_b64 s[16:17], s[16:17], exec
	s_and_b64 s[38:39], vcc, exec
	v_mov_b32_e32 v6, s20
	s_or_b64 s[16:17], s[16:17], s[38:39]
; %bb.64:                               ;   in Loop: Header=BB21_62 Depth=3
	s_or_b64 exec, exec, s[18:19]
	s_and_saveexec_b64 s[18:19], s[16:17]
	s_cbranch_execz .LBB21_61
; %bb.65:                               ;   in Loop: Header=BB21_62 Depth=3
	global_store_dword v[2:3], v6, off
	s_branch .LBB21_61
.LBB21_66:
	v_cmp_gt_u32_e32 vcc, s29, v42
	s_mov_b64 s[4:5], -1
	s_mov_b64 s[2:3], 0
	s_barrier
	s_and_saveexec_b64 s[0:1], vcc
	s_cbranch_execz .LBB21_72
; %bb.67:
	v_mov_b32_e32 v43, 0
                                        ; implicit-def: $sgpr4_sgpr5
                                        ; implicit-def: $sgpr8_sgpr9
                                        ; implicit-def: $sgpr6_sgpr7
	s_branch .LBB21_69
.LBB21_68:                              ;   in Loop: Header=BB21_69 Depth=1
	s_or_b64 exec, exec, s[10:11]
	s_xor_b64 s[10:11], s[6:7], -1
	s_and_b64 s[12:13], exec, s[8:9]
	s_or_b64 s[2:3], s[12:13], s[2:3]
	s_andn2_b64 s[4:5], s[4:5], exec
	s_and_b64 s[10:11], s[10:11], exec
	s_or_b64 s[4:5], s[4:5], s[10:11]
	s_andn2_b64 exec, exec, s[2:3]
	s_cbranch_execz .LBB21_71
.LBB21_69:                              ; =>This Inner Loop Header: Depth=1
	v_lshl_add_u64 v[0:1], v[42:43], 2, s[24:25]
	global_load_dword v0, v[0:1], off
	s_or_b64 s[6:7], s[6:7], exec
	s_or_b64 s[8:9], s[8:9], exec
	s_waitcnt vmcnt(0)
	v_cmp_eq_u32_e32 vcc, v42, v0
	s_and_saveexec_b64 s[10:11], vcc
	s_cbranch_execz .LBB21_68
; %bb.70:                               ;   in Loop: Header=BB21_69 Depth=1
	v_add_u32_e32 v42, v42, v4
	v_cmp_le_u32_e32 vcc, s29, v42
	s_andn2_b64 s[8:9], s[8:9], exec
	s_and_b64 s[12:13], vcc, exec
	s_andn2_b64 s[6:7], s[6:7], exec
	s_or_b64 s[8:9], s[8:9], s[12:13]
	s_branch .LBB21_68
.LBB21_71:
	s_or_b64 exec, exec, s[2:3]
	s_mov_b64 s[2:3], exec
	s_orn2_b64 s[4:5], s[4:5], exec
.LBB21_72:
	s_or_b64 exec, exec, s[0:1]
	s_and_saveexec_b64 s[0:1], s[4:5]
	s_cbranch_execz .LBB21_74
; %bb.73:
	s_andn2_b64 s[2:3], s[2:3], exec
	s_barrier
	s_barrier
.LBB21_74:
	s_or_b64 exec, exec, s[0:1]
	s_mov_b64 s[0:1], s[34:35]
	s_and_saveexec_b64 s[4:5], s[2:3]
	s_xor_b64 s[24:25], exec, s[4:5]
	s_cbranch_execz .LBB21_76
; %bb.75:
	s_add_u32 s8, s22, 0x58
	s_addc_u32 s9, s23, 0
	s_getpc_b64 s[0:1]
	s_add_u32 s0, s0, .str.10@rel32@lo+4
	s_addc_u32 s1, s1, .str.10@rel32@hi+12
	s_getpc_b64 s[2:3]
	s_add_u32 s2, s2, .str.5@rel32@lo+4
	s_addc_u32 s3, s3, .str.5@rel32@hi+12
	s_getpc_b64 s[4:5]
	s_add_u32 s4, s4, __PRETTY_FUNCTION__._ZN9rocsolver6v33100L18syevx_permute_swapIdEEviiiPiPT_iS2_@rel32@lo+4
	s_addc_u32 s5, s5, __PRETTY_FUNCTION__._ZN9rocsolver6v33100L18syevx_permute_swapIdEEviiiPiPT_iS2_@rel32@hi+12
	s_getpc_b64 s[6:7]
	s_add_u32 s6, s6, __assert_fail@rel32@lo+4
	s_addc_u32 s7, s7, __assert_fail@rel32@hi+12
	v_mov_b32_e32 v0, s0
	v_mov_b32_e32 v1, s1
	;; [unrolled: 1-line block ×7, first 2 shown]
	s_swappc_b64 s[30:31], s[6:7]
	s_or_b64 s[0:1], s[34:35], exec
.LBB21_76:
	s_or_b64 exec, exec, s[24:25]
	s_andn2_b64 s[2:3], s[34:35], exec
	s_and_b64 s[0:1], s[0:1], exec
	s_or_b64 s[34:35], s[2:3], s[0:1]
.LBB21_77:
	s_or_b64 exec, exec, s[36:37]
	s_branch .LBB21_79
.LBB21_78:
	s_add_u32 s8, s22, 0x58
	s_addc_u32 s9, s23, 0
	s_getpc_b64 s[0:1]
	s_add_u32 s0, s0, .str.6@rel32@lo+4
	s_addc_u32 s1, s1, .str.6@rel32@hi+12
	s_getpc_b64 s[2:3]
	s_add_u32 s2, s2, .str.5@rel32@lo+4
	s_addc_u32 s3, s3, .str.5@rel32@hi+12
	s_getpc_b64 s[4:5]
	s_add_u32 s4, s4, __PRETTY_FUNCTION__._ZN9rocsolver6v33100L15syevx_sort_eigsIddPdEEviPiPT0_lT1_iilS3_lS3_S3_@rel32@lo+4
	s_addc_u32 s5, s5, __PRETTY_FUNCTION__._ZN9rocsolver6v33100L15syevx_sort_eigsIddPdEEviPiPT0_lT1_iilS3_lS3_S3_@rel32@hi+12
	s_getpc_b64 s[6:7]
	s_add_u32 s6, s6, __assert_fail@rel32@lo+4
	s_addc_u32 s7, s7, __assert_fail@rel32@hi+12
	v_mov_b32_e32 v0, s0
	v_mov_b32_e32 v1, s1
	;; [unrolled: 1-line block ×7, first 2 shown]
	s_swappc_b64 s[30:31], s[6:7]
	s_or_b64 s[34:35], s[34:35], exec
.LBB21_79:
	s_branch .LBB21_4
.LBB21_80:
	s_add_u32 s8, s22, 0x58
	s_addc_u32 s9, s23, 0
	s_getpc_b64 s[0:1]
	s_add_u32 s0, s0, .str.4@rel32@lo+4
	s_addc_u32 s1, s1, .str.4@rel32@hi+12
	s_getpc_b64 s[2:3]
	s_add_u32 s2, s2, .str.5@rel32@lo+4
	s_addc_u32 s3, s3, .str.5@rel32@hi+12
	s_getpc_b64 s[4:5]
	s_add_u32 s4, s4, __PRETTY_FUNCTION__._ZN9rocsolver6v33100L15syevx_sort_eigsIddPdEEviPiPT0_lT1_iilS3_lS3_S3_@rel32@lo+4
	s_addc_u32 s5, s5, __PRETTY_FUNCTION__._ZN9rocsolver6v33100L15syevx_sort_eigsIddPdEEviPiPT0_lT1_iilS3_lS3_S3_@rel32@hi+12
	s_getpc_b64 s[6:7]
	s_add_u32 s6, s6, __assert_fail@rel32@lo+4
	s_addc_u32 s7, s7, __assert_fail@rel32@hi+12
	v_mov_b32_e32 v0, s0
	v_mov_b32_e32 v1, s1
	;; [unrolled: 1-line block ×7, first 2 shown]
	s_swappc_b64 s[30:31], s[6:7]
	s_or_b64 s[34:35], s[34:35], exec
	s_and_saveexec_b64 s[0:1], s[34:35]
	s_cbranch_execz .LBB21_5
.LBB21_81:
	; divergent unreachable
	s_endpgm
	.section	.rodata,"a",@progbits
	.p2align	6, 0x0
	.amdhsa_kernel _ZN9rocsolver6v33100L15syevx_sort_eigsIddPdEEviPiPT0_lT1_iilS3_lS3_S3_
		.amdhsa_group_segment_fixed_size 0
		.amdhsa_private_segment_fixed_size 64
		.amdhsa_kernarg_size 344
		.amdhsa_user_sgpr_count 2
		.amdhsa_user_sgpr_dispatch_ptr 0
		.amdhsa_user_sgpr_queue_ptr 0
		.amdhsa_user_sgpr_kernarg_segment_ptr 1
		.amdhsa_user_sgpr_dispatch_id 0
		.amdhsa_user_sgpr_kernarg_preload_length 0
		.amdhsa_user_sgpr_kernarg_preload_offset 0
		.amdhsa_user_sgpr_private_segment_size 0
		.amdhsa_uses_dynamic_stack 0
		.amdhsa_enable_private_segment 1
		.amdhsa_system_sgpr_workgroup_id_x 1
		.amdhsa_system_sgpr_workgroup_id_y 1
		.amdhsa_system_sgpr_workgroup_id_z 0
		.amdhsa_system_sgpr_workgroup_info 0
		.amdhsa_system_vgpr_workitem_id 2
		.amdhsa_next_free_vgpr 54
		.amdhsa_next_free_sgpr 52
		.amdhsa_accum_offset 56
		.amdhsa_reserve_vcc 1
		.amdhsa_float_round_mode_32 0
		.amdhsa_float_round_mode_16_64 0
		.amdhsa_float_denorm_mode_32 3
		.amdhsa_float_denorm_mode_16_64 3
		.amdhsa_dx10_clamp 1
		.amdhsa_ieee_mode 1
		.amdhsa_fp16_overflow 0
		.amdhsa_tg_split 0
		.amdhsa_exception_fp_ieee_invalid_op 0
		.amdhsa_exception_fp_denorm_src 0
		.amdhsa_exception_fp_ieee_div_zero 0
		.amdhsa_exception_fp_ieee_overflow 0
		.amdhsa_exception_fp_ieee_underflow 0
		.amdhsa_exception_fp_ieee_inexact 0
		.amdhsa_exception_int_div_zero 0
	.end_amdhsa_kernel
	.section	.text._ZN9rocsolver6v33100L15syevx_sort_eigsIddPdEEviPiPT0_lT1_iilS3_lS3_S3_,"axG",@progbits,_ZN9rocsolver6v33100L15syevx_sort_eigsIddPdEEviPiPT0_lT1_iilS3_lS3_S3_,comdat
.Lfunc_end21:
	.size	_ZN9rocsolver6v33100L15syevx_sort_eigsIddPdEEviPiPT0_lT1_iilS3_lS3_S3_, .Lfunc_end21-_ZN9rocsolver6v33100L15syevx_sort_eigsIddPdEEviPiPT0_lT1_iilS3_lS3_S3_
                                        ; -- End function
	.set _ZN9rocsolver6v33100L15syevx_sort_eigsIddPdEEviPiPT0_lT1_iilS3_lS3_S3_.num_vgpr, max(45, .L__assert_fail.num_vgpr)
	.set _ZN9rocsolver6v33100L15syevx_sort_eigsIddPdEEviPiPT0_lT1_iilS3_lS3_S3_.num_agpr, max(0, .L__assert_fail.num_agpr)
	.set _ZN9rocsolver6v33100L15syevx_sort_eigsIddPdEEviPiPT0_lT1_iilS3_lS3_S3_.numbered_sgpr, max(52, .L__assert_fail.numbered_sgpr)
	.set _ZN9rocsolver6v33100L15syevx_sort_eigsIddPdEEviPiPT0_lT1_iilS3_lS3_S3_.num_named_barrier, max(0, .L__assert_fail.num_named_barrier)
	.set _ZN9rocsolver6v33100L15syevx_sort_eigsIddPdEEviPiPT0_lT1_iilS3_lS3_S3_.private_seg_size, 0+max(.L__assert_fail.private_seg_size)
	.set _ZN9rocsolver6v33100L15syevx_sort_eigsIddPdEEviPiPT0_lT1_iilS3_lS3_S3_.uses_vcc, or(1, .L__assert_fail.uses_vcc)
	.set _ZN9rocsolver6v33100L15syevx_sort_eigsIddPdEEviPiPT0_lT1_iilS3_lS3_S3_.uses_flat_scratch, or(0, .L__assert_fail.uses_flat_scratch)
	.set _ZN9rocsolver6v33100L15syevx_sort_eigsIddPdEEviPiPT0_lT1_iilS3_lS3_S3_.has_dyn_sized_stack, or(0, .L__assert_fail.has_dyn_sized_stack)
	.set _ZN9rocsolver6v33100L15syevx_sort_eigsIddPdEEviPiPT0_lT1_iilS3_lS3_S3_.has_recursion, or(0, .L__assert_fail.has_recursion)
	.set _ZN9rocsolver6v33100L15syevx_sort_eigsIddPdEEviPiPT0_lT1_iilS3_lS3_S3_.has_indirect_call, or(0, .L__assert_fail.has_indirect_call)
	.section	.AMDGPU.csdata,"",@progbits
; Kernel info:
; codeLenInByte = 2612
; TotalNumSgprs: 58
; NumVgprs: 54
; NumAgprs: 0
; TotalNumVgprs: 54
; ScratchSize: 64
; MemoryBound: 0
; FloatMode: 240
; IeeeMode: 1
; LDSByteSize: 0 bytes/workgroup (compile time only)
; SGPRBlocks: 7
; VGPRBlocks: 6
; NumSGPRsForWavesPerEU: 58
; NumVGPRsForWavesPerEU: 54
; AccumOffset: 56
; Occupancy: 8
; WaveLimiterHint : 1
; COMPUTE_PGM_RSRC2:SCRATCH_EN: 1
; COMPUTE_PGM_RSRC2:USER_SGPR: 2
; COMPUTE_PGM_RSRC2:TRAP_HANDLER: 0
; COMPUTE_PGM_RSRC2:TGID_X_EN: 1
; COMPUTE_PGM_RSRC2:TGID_Y_EN: 1
; COMPUTE_PGM_RSRC2:TGID_Z_EN: 0
; COMPUTE_PGM_RSRC2:TIDIG_COMP_CNT: 2
; COMPUTE_PGM_RSRC3_GFX90A:ACCUM_OFFSET: 13
; COMPUTE_PGM_RSRC3_GFX90A:TG_SPLIT: 0
	.section	.text._ZN9rocsolver6v33100L19bdsvdx_reorder_vectIdPdEEv13rocblas_fill_iPiPT_lT0_iilS6_,"axG",@progbits,_ZN9rocsolver6v33100L19bdsvdx_reorder_vectIdPdEEv13rocblas_fill_iPiPT_lT0_iilS6_,comdat
	.globl	_ZN9rocsolver6v33100L19bdsvdx_reorder_vectIdPdEEv13rocblas_fill_iPiPT_lT0_iilS6_ ; -- Begin function _ZN9rocsolver6v33100L19bdsvdx_reorder_vectIdPdEEv13rocblas_fill_iPiPT_lT0_iilS6_
	.p2align	8
	.type	_ZN9rocsolver6v33100L19bdsvdx_reorder_vectIdPdEEv13rocblas_fill_iPiPT_lT0_iilS6_,@function
_ZN9rocsolver6v33100L19bdsvdx_reorder_vectIdPdEEv13rocblas_fill_iPiPT_lT0_iilS6_: ; @_ZN9rocsolver6v33100L19bdsvdx_reorder_vectIdPdEEv13rocblas_fill_iPiPT_lT0_iilS6_
; %bb.0:
	s_load_dwordx8 s[4:11], s[0:1], 0x8
	s_load_dwordx2 s[16:17], s[0:1], 0x0
	s_mov_b32 s2, s3
	s_ashr_i32 s3, s3, 31
	s_lshl_b64 s[12:13], s[2:3], 2
	s_waitcnt lgkmcnt(0)
	s_add_u32 s4, s4, s12
	s_addc_u32 s5, s5, s13
	s_load_dword s24, s[4:5], 0x0
	s_waitcnt lgkmcnt(0)
	s_cmp_le_i32 s24, s17
	s_cbranch_scc1 .LBB22_4
; %bb.1:
	v_cmp_eq_u32_e32 vcc, 0, v0
	s_and_saveexec_b64 s[12:13], vcc
	s_cbranch_execz .LBB22_3
; %bb.2:
	v_mov_b32_e32 v1, 0
	v_mov_b32_e32 v2, s17
	global_store_dword v1, v2, s[4:5]
.LBB22_3:
	s_or_b64 exec, exec, s[12:13]
	s_mov_b32 s24, s17
.LBB22_4:
	s_load_dwordx4 s[12:15], s[0:1], 0x30
	s_mul_i32 s4, s2, s17
	s_lshl_b32 s4, s4, 1
	s_ashr_i32 s5, s4, 31
	s_lshl_b64 s[4:5], s[4:5], 3
	s_waitcnt lgkmcnt(0)
	s_add_u32 s14, s14, s4
	s_addc_u32 s15, s15, s5
	v_cmp_gt_i32_e32 vcc, s24, v0
	s_and_saveexec_b64 s[4:5], vcc
	s_cbranch_execz .LBB22_7
; %bb.5:
	s_mul_i32 s18, s8, s3
	s_mul_hi_u32 s19, s8, s2
	s_add_i32 s18, s19, s18
	s_mul_i32 s9, s9, s2
	s_add_i32 s9, s18, s9
	s_load_dword s18, s[0:1], 0x4c
	s_mul_i32 s8, s8, s2
	s_lshl_b64 s[8:9], s[8:9], 3
	s_add_u32 s6, s6, s8
	s_addc_u32 s7, s7, s9
	s_waitcnt lgkmcnt(0)
	s_and_b32 s18, s18, 0xffff
	s_mov_b64 s[8:9], 0
	v_mov_b32_e32 v2, v0
.LBB22_6:                               ; =>This Inner Loop Header: Depth=1
	v_ashrrev_i32_e32 v3, 31, v2
	v_lshlrev_b64 v[4:5], 3, v[2:3]
	v_lshl_add_u64 v[6:7], s[14:15], 0, v[4:5]
	global_load_dwordx2 v[6:7], v[6:7], off
	v_add_u32_e32 v2, s18, v2
	v_cmp_le_i32_e32 vcc, s24, v2
	v_lshl_add_u64 v[4:5], s[6:7], 0, v[4:5]
	s_or_b64 s[8:9], vcc, s[8:9]
	s_waitcnt vmcnt(0)
	v_xor_b32_e32 v7, 0x80000000, v7
	global_store_dwordx2 v[4:5], v[6:7], off
	s_andn2_b64 exec, exec, s[8:9]
	s_cbranch_execnz .LBB22_6
.LBB22_7:
	s_or_b64 exec, exec, s[4:5]
	s_cmp_lt_i32 s24, 1
	s_barrier
	s_cbranch_scc1 .LBB22_23
; %bb.8:
	s_load_dwordx2 s[8:9], s[0:1], 0x28
	s_mul_i32 s3, s12, s3
	s_mul_hi_u32 s4, s12, s2
	s_add_i32 s3, s4, s3
	s_mul_i32 s6, s13, s2
	s_add_i32 s3, s3, s6
	s_mul_i32 s2, s12, s2
	s_waitcnt lgkmcnt(0)
	s_ashr_i32 s5, s8, 31
	s_lshl_b64 s[2:3], s[2:3], 3
	s_mov_b32 s4, s8
	s_add_u32 s6, s10, s2
	s_addc_u32 s7, s11, s3
	s_lshl_b64 s[2:3], s[4:5], 3
	s_add_u32 s10, s6, s2
	s_addc_u32 s11, s7, s3
	s_lshl_b32 s8, s17, 1
	s_add_u32 s0, s0, 64
	s_addc_u32 s1, s1, 0
	s_cmpk_lg_i32 s16, 0x79
	s_cselect_b64 s[4:5], -1, 0
	v_cndmask_b32_e64 v2, 0, 1, s[4:5]
	s_mov_b32 s12, 0x667f3bcd
	v_cmp_gt_i32_e64 s[6:7], s8, v0
	v_cmp_gt_i32_e64 s[2:3], s17, v0
	v_lshlrev_b32_e32 v1, 1, v0
	s_mov_b32 s16, 0
	v_cmp_ne_u32_e64 s[4:5], 1, v2
	s_mov_b32 s13, 0x3ff6a09e
	s_mov_b32 s19, 0xbff6a09e
	;; [unrolled: 1-line block ×4, first 2 shown]
	s_branch .LBB22_11
.LBB22_9:                               ;   in Loop: Header=BB22_11 Depth=1
	s_or_b64 exec, exec, s[20:21]
.LBB22_10:                              ;   in Loop: Header=BB22_11 Depth=1
	s_add_i32 s26, s26, 1
	s_add_i32 s16, s16, s9
	s_add_i32 s25, s25, s9
	s_cmp_lg_u32 s26, s24
	s_barrier
	s_cbranch_scc0 .LBB22_23
.LBB22_11:                              ; =>This Loop Header: Depth=1
                                        ;     Child Loop BB22_13 Depth 2
                                        ;     Child Loop BB22_17 Depth 2
	;; [unrolled: 1-line block ×3, first 2 shown]
	s_and_saveexec_b64 s[20:21], s[6:7]
	s_cbranch_execz .LBB22_14
; %bb.12:                               ;   in Loop: Header=BB22_11 Depth=1
	s_load_dword s18, s[0:1], 0xc
	s_mov_b64 s[22:23], 0
	v_mov_b32_e32 v2, v0
	s_waitcnt lgkmcnt(0)
	s_and_b32 s18, s18, 0xffff
.LBB22_13:                              ;   Parent Loop BB22_11 Depth=1
                                        ; =>  This Inner Loop Header: Depth=2
	v_add_u32_e32 v4, s16, v2
	v_ashrrev_i32_e32 v5, 31, v4
	v_lshl_add_u64 v[4:5], v[4:5], 3, s[10:11]
	global_load_dwordx2 v[4:5], v[4:5], off
	v_ashrrev_i32_e32 v3, 31, v2
	v_lshl_add_u64 v[6:7], v[2:3], 3, s[14:15]
	v_add_u32_e32 v2, s18, v2
	v_cmp_le_i32_e32 vcc, s8, v2
	s_or_b64 s[22:23], vcc, s[22:23]
	s_waitcnt vmcnt(0)
	global_store_dwordx2 v[6:7], v[4:5], off
	s_andn2_b64 exec, exec, s[22:23]
	s_cbranch_execnz .LBB22_13
.LBB22_14:                              ;   in Loop: Header=BB22_11 Depth=1
	s_or_b64 exec, exec, s[20:21]
	s_and_b64 vcc, exec, s[4:5]
	s_mov_b64 s[20:21], -1
	s_barrier
	s_cbranch_vccnz .LBB22_19
; %bb.15:                               ;   in Loop: Header=BB22_11 Depth=1
	s_and_saveexec_b64 s[20:21], s[2:3]
	s_cbranch_execz .LBB22_18
; %bb.16:                               ;   in Loop: Header=BB22_11 Depth=1
	s_load_dword s18, s[0:1], 0xc
	s_mov_b64 s[22:23], 0
	v_mov_b32_e32 v2, v1
	v_mov_b32_e32 v4, v0
	s_waitcnt lgkmcnt(0)
	s_and_b32 s27, s18, 0xffff
	s_lshl_b32 s28, s27, 1
.LBB22_17:                              ;   Parent Loop BB22_11 Depth=1
                                        ; =>  This Inner Loop Header: Depth=2
	v_ashrrev_i32_e32 v3, 31, v2
	v_lshl_add_u64 v[6:7], v[2:3], 3, s[14:15]
	global_load_dwordx2 v[8:9], v[6:7], off
	v_add_u32_e32 v10, s16, v4
	v_ashrrev_i32_e32 v11, 31, v10
	v_lshl_add_u64 v[10:11], v[10:11], 3, s[10:11]
	s_mov_b32 s18, s12
	v_add_u32_e32 v2, s28, v2
	s_waitcnt vmcnt(0)
	v_mul_f64 v[8:9], v[8:9], s[12:13]
	global_store_dwordx2 v[10:11], v[8:9], off
	global_load_dwordx2 v[6:7], v[6:7], off offset:8
	v_add_u32_e32 v8, s25, v4
	v_add_u32_e32 v4, s27, v4
	v_ashrrev_i32_e32 v9, 31, v8
	v_cmp_le_i32_e32 vcc, s17, v4
	v_lshl_add_u64 v[8:9], v[8:9], 3, s[10:11]
	s_or_b64 s[22:23], vcc, s[22:23]
	s_waitcnt vmcnt(0)
	v_mul_f64 v[6:7], v[6:7], s[18:19]
	global_store_dwordx2 v[8:9], v[6:7], off
	s_andn2_b64 exec, exec, s[22:23]
	s_cbranch_execnz .LBB22_17
.LBB22_18:                              ;   in Loop: Header=BB22_11 Depth=1
	s_or_b64 exec, exec, s[20:21]
	s_mov_b64 s[20:21], 0
.LBB22_19:                              ;   in Loop: Header=BB22_11 Depth=1
	s_andn2_b64 vcc, exec, s[20:21]
	s_cbranch_vccnz .LBB22_10
; %bb.20:                               ;   in Loop: Header=BB22_11 Depth=1
	s_and_saveexec_b64 s[20:21], s[2:3]
	s_cbranch_execz .LBB22_9
; %bb.21:                               ;   in Loop: Header=BB22_11 Depth=1
	s_load_dword s18, s[0:1], 0xc
	s_mov_b64 s[22:23], 0
	v_mov_b32_e32 v2, v1
	v_mov_b32_e32 v4, v0
	s_waitcnt lgkmcnt(0)
	s_and_b32 s27, s18, 0xffff
	s_lshl_b32 s28, s27, 1
.LBB22_22:                              ;   Parent Loop BB22_11 Depth=1
                                        ; =>  This Inner Loop Header: Depth=2
	v_ashrrev_i32_e32 v3, 31, v2
	v_lshl_add_u64 v[6:7], v[2:3], 3, s[14:15]
	global_load_dwordx2 v[8:9], v[6:7], off offset:8
	v_add_u32_e32 v10, s16, v4
	v_ashrrev_i32_e32 v11, 31, v10
	v_lshl_add_u64 v[10:11], v[10:11], 3, s[10:11]
	s_mov_b32 s18, s12
	v_add_u32_e32 v2, s28, v2
	s_waitcnt vmcnt(0)
	v_mul_f64 v[8:9], v[8:9], s[12:13]
	global_store_dwordx2 v[10:11], v[8:9], off
	global_load_dwordx2 v[6:7], v[6:7], off
	v_add_u32_e32 v8, s25, v4
	v_add_u32_e32 v4, s27, v4
	v_ashrrev_i32_e32 v9, 31, v8
	v_cmp_le_i32_e32 vcc, s17, v4
	v_lshl_add_u64 v[8:9], v[8:9], 3, s[10:11]
	s_or_b64 s[22:23], vcc, s[22:23]
	s_waitcnt vmcnt(0)
	v_mul_f64 v[6:7], v[6:7], s[18:19]
	global_store_dwordx2 v[8:9], v[6:7], off
	s_andn2_b64 exec, exec, s[22:23]
	s_cbranch_execnz .LBB22_22
	s_branch .LBB22_9
.LBB22_23:
	s_endpgm
	.section	.rodata,"a",@progbits
	.p2align	6, 0x0
	.amdhsa_kernel _ZN9rocsolver6v33100L19bdsvdx_reorder_vectIdPdEEv13rocblas_fill_iPiPT_lT0_iilS6_
		.amdhsa_group_segment_fixed_size 0
		.amdhsa_private_segment_fixed_size 0
		.amdhsa_kernarg_size 320
		.amdhsa_user_sgpr_count 2
		.amdhsa_user_sgpr_dispatch_ptr 0
		.amdhsa_user_sgpr_queue_ptr 0
		.amdhsa_user_sgpr_kernarg_segment_ptr 1
		.amdhsa_user_sgpr_dispatch_id 0
		.amdhsa_user_sgpr_kernarg_preload_length 0
		.amdhsa_user_sgpr_kernarg_preload_offset 0
		.amdhsa_user_sgpr_private_segment_size 0
		.amdhsa_uses_dynamic_stack 0
		.amdhsa_enable_private_segment 0
		.amdhsa_system_sgpr_workgroup_id_x 1
		.amdhsa_system_sgpr_workgroup_id_y 1
		.amdhsa_system_sgpr_workgroup_id_z 0
		.amdhsa_system_sgpr_workgroup_info 0
		.amdhsa_system_vgpr_workitem_id 0
		.amdhsa_next_free_vgpr 12
		.amdhsa_next_free_sgpr 29
		.amdhsa_accum_offset 12
		.amdhsa_reserve_vcc 1
		.amdhsa_float_round_mode_32 0
		.amdhsa_float_round_mode_16_64 0
		.amdhsa_float_denorm_mode_32 3
		.amdhsa_float_denorm_mode_16_64 3
		.amdhsa_dx10_clamp 1
		.amdhsa_ieee_mode 1
		.amdhsa_fp16_overflow 0
		.amdhsa_tg_split 0
		.amdhsa_exception_fp_ieee_invalid_op 0
		.amdhsa_exception_fp_denorm_src 0
		.amdhsa_exception_fp_ieee_div_zero 0
		.amdhsa_exception_fp_ieee_overflow 0
		.amdhsa_exception_fp_ieee_underflow 0
		.amdhsa_exception_fp_ieee_inexact 0
		.amdhsa_exception_int_div_zero 0
	.end_amdhsa_kernel
	.section	.text._ZN9rocsolver6v33100L19bdsvdx_reorder_vectIdPdEEv13rocblas_fill_iPiPT_lT0_iilS6_,"axG",@progbits,_ZN9rocsolver6v33100L19bdsvdx_reorder_vectIdPdEEv13rocblas_fill_iPiPT_lT0_iilS6_,comdat
.Lfunc_end22:
	.size	_ZN9rocsolver6v33100L19bdsvdx_reorder_vectIdPdEEv13rocblas_fill_iPiPT_lT0_iilS6_, .Lfunc_end22-_ZN9rocsolver6v33100L19bdsvdx_reorder_vectIdPdEEv13rocblas_fill_iPiPT_lT0_iilS6_
                                        ; -- End function
	.set _ZN9rocsolver6v33100L19bdsvdx_reorder_vectIdPdEEv13rocblas_fill_iPiPT_lT0_iilS6_.num_vgpr, 12
	.set _ZN9rocsolver6v33100L19bdsvdx_reorder_vectIdPdEEv13rocblas_fill_iPiPT_lT0_iilS6_.num_agpr, 0
	.set _ZN9rocsolver6v33100L19bdsvdx_reorder_vectIdPdEEv13rocblas_fill_iPiPT_lT0_iilS6_.numbered_sgpr, 29
	.set _ZN9rocsolver6v33100L19bdsvdx_reorder_vectIdPdEEv13rocblas_fill_iPiPT_lT0_iilS6_.num_named_barrier, 0
	.set _ZN9rocsolver6v33100L19bdsvdx_reorder_vectIdPdEEv13rocblas_fill_iPiPT_lT0_iilS6_.private_seg_size, 0
	.set _ZN9rocsolver6v33100L19bdsvdx_reorder_vectIdPdEEv13rocblas_fill_iPiPT_lT0_iilS6_.uses_vcc, 1
	.set _ZN9rocsolver6v33100L19bdsvdx_reorder_vectIdPdEEv13rocblas_fill_iPiPT_lT0_iilS6_.uses_flat_scratch, 0
	.set _ZN9rocsolver6v33100L19bdsvdx_reorder_vectIdPdEEv13rocblas_fill_iPiPT_lT0_iilS6_.has_dyn_sized_stack, 0
	.set _ZN9rocsolver6v33100L19bdsvdx_reorder_vectIdPdEEv13rocblas_fill_iPiPT_lT0_iilS6_.has_recursion, 0
	.set _ZN9rocsolver6v33100L19bdsvdx_reorder_vectIdPdEEv13rocblas_fill_iPiPT_lT0_iilS6_.has_indirect_call, 0
	.section	.AMDGPU.csdata,"",@progbits
; Kernel info:
; codeLenInByte = 984
; TotalNumSgprs: 35
; NumVgprs: 12
; NumAgprs: 0
; TotalNumVgprs: 12
; ScratchSize: 0
; MemoryBound: 0
; FloatMode: 240
; IeeeMode: 1
; LDSByteSize: 0 bytes/workgroup (compile time only)
; SGPRBlocks: 4
; VGPRBlocks: 1
; NumSGPRsForWavesPerEU: 35
; NumVGPRsForWavesPerEU: 12
; AccumOffset: 12
; Occupancy: 8
; WaveLimiterHint : 0
; COMPUTE_PGM_RSRC2:SCRATCH_EN: 0
; COMPUTE_PGM_RSRC2:USER_SGPR: 2
; COMPUTE_PGM_RSRC2:TRAP_HANDLER: 0
; COMPUTE_PGM_RSRC2:TGID_X_EN: 1
; COMPUTE_PGM_RSRC2:TGID_Y_EN: 1
; COMPUTE_PGM_RSRC2:TGID_Z_EN: 0
; COMPUTE_PGM_RSRC2:TIDIG_COMP_CNT: 0
; COMPUTE_PGM_RSRC3_GFX90A:ACCUM_OFFSET: 2
; COMPUTE_PGM_RSRC3_GFX90A:TG_SPLIT: 0
	.text
	.p2alignl 6, 3212836864
	.fill 256, 4, 3212836864
	.section	.AMDGPU.gpr_maximums,"",@progbits
	.set amdgpu.max_num_vgpr, 54
	.set amdgpu.max_num_agpr, 0
	.set amdgpu.max_num_sgpr, 34
	.text
	.type	__const.__assert_fail.fmt,@object ; @__const.__assert_fail.fmt
	.section	.rodata.str1.16,"aMS",@progbits,1
	.p2align	4, 0x0
__const.__assert_fail.fmt:
	.asciz	"%s:%u: %s: Device-side assertion `%s' failed.\n"
	.size	__const.__assert_fail.fmt, 47

	.type	.str.4,@object                  ; @.str.4
	.section	.rodata.str1.1,"aMS",@progbits,1
.str.4:
	.asciz	"nev <= n"
	.size	.str.4, 9

	.type	.str.5,@object                  ; @.str.5
.str.5:
	.asciz	"/root/src/amdgpu-assembly/repos/ROCm__rocSOLVER/library/src/lapack/roclapack_syevx_heevx.hpp"
	.size	.str.5, 93

	.type	__PRETTY_FUNCTION__._ZN9rocsolver6v33100L15syevx_sort_eigsIffPfEEviPiPT0_lT1_iilS3_lS3_S3_,@object ; @__PRETTY_FUNCTION__._ZN9rocsolver6v33100L15syevx_sort_eigsIffPfEEviPiPT0_lT1_iilS3_lS3_S3_
__PRETTY_FUNCTION__._ZN9rocsolver6v33100L15syevx_sort_eigsIffPfEEviPiPT0_lT1_iilS3_lS3_S3_:
	.asciz	"void rocsolver::syevx_sort_eigs(const rocblas_int, rocblas_int *, S *, const rocblas_stride, U, const rocblas_int, const rocblas_int, const rocblas_stride, rocblas_int *, const rocblas_stride, rocblas_int *, rocblas_int *) [T = float, S = float, U = float *]"
	.size	__PRETTY_FUNCTION__._ZN9rocsolver6v33100L15syevx_sort_eigsIffPfEEviPiPT0_lT1_iilS3_lS3_S3_, 259

	.type	.str.6,@object                  ; @.str.6
.str.6:
	.asciz	"isplit_map != nullptr"
	.size	.str.6, 22

	.type	__const._ZN9rocsolver6v33100L20shell_sort_ascendingIfiEEvT0_PT_PS2_.gaps,@object ; @__const._ZN9rocsolver6v33100L20shell_sort_ascendingIfiEEvT0_PT_PS2_.gaps
	.section	.rodata.cst32,"aM",@progbits,32
	.p2align	4, 0x0
__const._ZN9rocsolver6v33100L20shell_sort_ascendingIfiEEvT0_PT_PS2_.gaps:
	.long	701                             ; 0x2bd
	.long	301                             ; 0x12d
	;; [unrolled: 1-line block ×3, first 2 shown]
	.long	57                              ; 0x39
	.long	23                              ; 0x17
	;; [unrolled: 1-line block ×3, first 2 shown]
	.long	4                               ; 0x4
	.long	1                               ; 0x1
	.size	__const._ZN9rocsolver6v33100L20shell_sort_ascendingIfiEEvT0_PT_PS2_.gaps, 32

	.type	.str.7,@object                  ; @.str.7
	.section	.rodata.str1.1,"aMS",@progbits,1
.str.7:
	.asciz	"std::isnan(a[k]) || std::isnan(a[k + 1]) || a[k] <= a[k + 1]"
	.size	.str.7, 61

	.type	.str.8,@object                  ; @.str.8
.str.8:
	.asciz	"/root/src/amdgpu-assembly/repos/ROCm__rocSOLVER/library/src/include/lib_device_helpers.hpp"
	.size	.str.8, 91

	.type	__PRETTY_FUNCTION__._ZN9rocsolver6v33100L20shell_sort_ascendingIfiEEvT0_PT_PS2_,@object ; @__PRETTY_FUNCTION__._ZN9rocsolver6v33100L20shell_sort_ascendingIfiEEvT0_PT_PS2_
__PRETTY_FUNCTION__._ZN9rocsolver6v33100L20shell_sort_ascendingIfiEEvT0_PT_PS2_:
	.asciz	"void rocsolver::shell_sort_ascending(const I, S *, I *) [S = float, I = int]"
	.size	__PRETTY_FUNCTION__._ZN9rocsolver6v33100L20shell_sort_ascendingIfiEEvT0_PT_PS2_, 77

	.type	.str.10,@object                 ; @.str.10
.str.10:
	.asciz	"map[k] == k"
	.size	.str.10, 12

	.type	__PRETTY_FUNCTION__._ZN9rocsolver6v33100L18syevx_permute_swapIfEEviiiPiPT_iS2_,@object ; @__PRETTY_FUNCTION__._ZN9rocsolver6v33100L18syevx_permute_swapIfEEviiiPiPT_iS2_
__PRETTY_FUNCTION__._ZN9rocsolver6v33100L18syevx_permute_swapIfEEviiiPiPT_iS2_:
	.asciz	"void rocsolver::syevx_permute_swap(rocblas_int, rocblas_int, rocblas_int, rocblas_int *, T *, rocblas_int, rocblas_int *) [T = float]"
	.size	__PRETTY_FUNCTION__._ZN9rocsolver6v33100L18syevx_permute_swapIfEEviiiPiPT_iS2_, 134

	.type	__PRETTY_FUNCTION__._ZN9rocsolver6v33100L15syevx_sort_eigsIddPdEEviPiPT0_lT1_iilS3_lS3_S3_,@object ; @__PRETTY_FUNCTION__._ZN9rocsolver6v33100L15syevx_sort_eigsIddPdEEviPiPT0_lT1_iilS3_lS3_S3_
__PRETTY_FUNCTION__._ZN9rocsolver6v33100L15syevx_sort_eigsIddPdEEviPiPT0_lT1_iilS3_lS3_S3_:
	.asciz	"void rocsolver::syevx_sort_eigs(const rocblas_int, rocblas_int *, S *, const rocblas_stride, U, const rocblas_int, const rocblas_int, const rocblas_stride, rocblas_int *, const rocblas_stride, rocblas_int *, rocblas_int *) [T = double, S = double, U = double *]"
	.size	__PRETTY_FUNCTION__._ZN9rocsolver6v33100L15syevx_sort_eigsIddPdEEviPiPT0_lT1_iilS3_lS3_S3_, 262

	.type	__const._ZN9rocsolver6v33100L20shell_sort_ascendingIdiEEvT0_PT_PS2_.gaps,@object ; @__const._ZN9rocsolver6v33100L20shell_sort_ascendingIdiEEvT0_PT_PS2_.gaps
	.section	.rodata.cst32,"aM",@progbits,32
	.p2align	4, 0x0
__const._ZN9rocsolver6v33100L20shell_sort_ascendingIdiEEvT0_PT_PS2_.gaps:
	.long	701                             ; 0x2bd
	.long	301                             ; 0x12d
	;; [unrolled: 1-line block ×3, first 2 shown]
	.long	57                              ; 0x39
	.long	23                              ; 0x17
	;; [unrolled: 1-line block ×3, first 2 shown]
	.long	4                               ; 0x4
	.long	1                               ; 0x1
	.size	__const._ZN9rocsolver6v33100L20shell_sort_ascendingIdiEEvT0_PT_PS2_.gaps, 32

	.type	__PRETTY_FUNCTION__._ZN9rocsolver6v33100L20shell_sort_ascendingIdiEEvT0_PT_PS2_,@object ; @__PRETTY_FUNCTION__._ZN9rocsolver6v33100L20shell_sort_ascendingIdiEEvT0_PT_PS2_
	.section	.rodata.str1.1,"aMS",@progbits,1
__PRETTY_FUNCTION__._ZN9rocsolver6v33100L20shell_sort_ascendingIdiEEvT0_PT_PS2_:
	.asciz	"void rocsolver::shell_sort_ascending(const I, S *, I *) [S = double, I = int]"
	.size	__PRETTY_FUNCTION__._ZN9rocsolver6v33100L20shell_sort_ascendingIdiEEvT0_PT_PS2_, 78

	.type	__PRETTY_FUNCTION__._ZN9rocsolver6v33100L18syevx_permute_swapIdEEviiiPiPT_iS2_,@object ; @__PRETTY_FUNCTION__._ZN9rocsolver6v33100L18syevx_permute_swapIdEEviiiPiPT_iS2_
__PRETTY_FUNCTION__._ZN9rocsolver6v33100L18syevx_permute_swapIdEEviiiPiPT_iS2_:
	.asciz	"void rocsolver::syevx_permute_swap(rocblas_int, rocblas_int, rocblas_int, rocblas_int *, T *, rocblas_int, rocblas_int *) [T = double]"
	.size	__PRETTY_FUNCTION__._ZN9rocsolver6v33100L18syevx_permute_swapIdEEviiiPiPT_iS2_, 135

	.type	__hip_cuid_f94c95af41207c5f,@object ; @__hip_cuid_f94c95af41207c5f
	.section	.bss,"aw",@nobits
	.globl	__hip_cuid_f94c95af41207c5f
__hip_cuid_f94c95af41207c5f:
	.byte	0                               ; 0x0
	.size	__hip_cuid_f94c95af41207c5f, 1

	.ident	"AMD clang version 22.0.0git (https://github.com/RadeonOpenCompute/llvm-project roc-7.2.4 26084 f58b06dce1f9c15707c5f808fd002e18c2accf7e)"
	.section	".note.GNU-stack","",@progbits
	.addrsig
	.addrsig_sym __hip_cuid_f94c95af41207c5f
	.amdgpu_metadata
---
amdhsa.kernels:
  - .agpr_count:     0
    .args:
      - .address_space:  global
        .offset:         0
        .size:           8
        .value_kind:     global_buffer
      - .offset:         8
        .size:           4
        .value_kind:     by_value
      - .offset:         12
        .size:           4
        .value_kind:     by_value
      - .offset:         16
        .size:           4
        .value_kind:     by_value
      - .offset:         24
        .size:           4
        .value_kind:     hidden_block_count_x
      - .offset:         28
        .size:           4
        .value_kind:     hidden_block_count_y
      - .offset:         32
        .size:           4
        .value_kind:     hidden_block_count_z
      - .offset:         36
        .size:           2
        .value_kind:     hidden_group_size_x
      - .offset:         38
        .size:           2
        .value_kind:     hidden_group_size_y
      - .offset:         40
        .size:           2
        .value_kind:     hidden_group_size_z
      - .offset:         42
        .size:           2
        .value_kind:     hidden_remainder_x
      - .offset:         44
        .size:           2
        .value_kind:     hidden_remainder_y
      - .offset:         46
        .size:           2
        .value_kind:     hidden_remainder_z
      - .offset:         64
        .size:           8
        .value_kind:     hidden_global_offset_x
      - .offset:         72
        .size:           8
        .value_kind:     hidden_global_offset_y
      - .offset:         80
        .size:           8
        .value_kind:     hidden_global_offset_z
      - .offset:         88
        .size:           2
        .value_kind:     hidden_grid_dims
    .group_segment_fixed_size: 0
    .kernarg_segment_align: 8
    .kernarg_segment_size: 280
    .language:       OpenCL C
    .language_version:
      - 2
      - 0
    .max_flat_workgroup_size: 1024
    .name:           _ZN9rocsolver6v33100L10reset_infoIiiiEEvPT_T0_T1_S4_
    .private_segment_fixed_size: 0
    .sgpr_count:     14
    .sgpr_spill_count: 0
    .symbol:         _ZN9rocsolver6v33100L10reset_infoIiiiEEvPT_T0_T1_S4_.kd
    .uniform_work_group_size: 1
    .uses_dynamic_stack: false
    .vgpr_count:     3
    .vgpr_spill_count: 0
    .wavefront_size: 64
  - .agpr_count:     0
    .args:
      - .address_space:  global
        .offset:         0
        .size:           8
        .value_kind:     global_buffer
      - .offset:         8
        .size:           4
        .value_kind:     by_value
      - .offset:         12
        .size:           4
        .value_kind:     by_value
      - .offset:         16
        .size:           4
        .value_kind:     by_value
      - .offset:         24
        .size:           4
        .value_kind:     hidden_block_count_x
      - .offset:         28
        .size:           4
        .value_kind:     hidden_block_count_y
      - .offset:         32
        .size:           4
        .value_kind:     hidden_block_count_z
      - .offset:         36
        .size:           2
        .value_kind:     hidden_group_size_x
      - .offset:         38
        .size:           2
        .value_kind:     hidden_group_size_y
      - .offset:         40
        .size:           2
        .value_kind:     hidden_group_size_z
      - .offset:         42
        .size:           2
        .value_kind:     hidden_remainder_x
      - .offset:         44
        .size:           2
        .value_kind:     hidden_remainder_y
      - .offset:         46
        .size:           2
        .value_kind:     hidden_remainder_z
      - .offset:         64
        .size:           8
        .value_kind:     hidden_global_offset_x
      - .offset:         72
        .size:           8
        .value_kind:     hidden_global_offset_y
      - .offset:         80
        .size:           8
        .value_kind:     hidden_global_offset_z
      - .offset:         88
        .size:           2
        .value_kind:     hidden_grid_dims
    .group_segment_fixed_size: 0
    .kernarg_segment_align: 8
    .kernarg_segment_size: 280
    .language:       OpenCL C
    .language_version:
      - 2
      - 0
    .max_flat_workgroup_size: 1024
    .name:           _ZN9rocsolver6v33100L10reset_infoIfiiEEvPT_T0_T1_S4_
    .private_segment_fixed_size: 0
    .sgpr_count:     14
    .sgpr_spill_count: 0
    .symbol:         _ZN9rocsolver6v33100L10reset_infoIfiiEEvPT_T0_T1_S4_.kd
    .uniform_work_group_size: 1
    .uses_dynamic_stack: false
    .vgpr_count:     4
    .vgpr_spill_count: 0
    .wavefront_size: 64
  - .agpr_count:     0
    .args:
      - .offset:         0
        .size:           4
        .value_kind:     by_value
      - .offset:         4
        .size:           4
        .value_kind:     by_value
      - .address_space:  global
        .offset:         8
        .size:           8
        .value_kind:     global_buffer
      - .offset:         16
        .size:           4
        .value_kind:     by_value
      - .offset:         20
        .size:           4
        .value_kind:     by_value
      - .offset:         24
        .size:           8
        .value_kind:     by_value
      - .address_space:  global
        .offset:         32
        .size:           8
        .value_kind:     global_buffer
      - .offset:         40
        .size:           4
        .value_kind:     by_value
      - .offset:         44
        .size:           4
        .value_kind:     by_value
      - .offset:         48
        .size:           8
        .value_kind:     by_value
      - .offset:         56
        .size:           1
        .value_kind:     by_value
      - .offset:         60
        .size:           4
        .value_kind:     by_value
      - .offset:         64
        .size:           4
        .value_kind:     by_value
      - .offset:         72
        .size:           4
        .value_kind:     hidden_block_count_x
      - .offset:         76
        .size:           4
        .value_kind:     hidden_block_count_y
      - .offset:         80
        .size:           4
        .value_kind:     hidden_block_count_z
      - .offset:         84
        .size:           2
        .value_kind:     hidden_group_size_x
      - .offset:         86
        .size:           2
        .value_kind:     hidden_group_size_y
      - .offset:         88
        .size:           2
        .value_kind:     hidden_group_size_z
      - .offset:         90
        .size:           2
        .value_kind:     hidden_remainder_x
      - .offset:         92
        .size:           2
        .value_kind:     hidden_remainder_y
      - .offset:         94
        .size:           2
        .value_kind:     hidden_remainder_z
      - .offset:         112
        .size:           8
        .value_kind:     hidden_global_offset_x
      - .offset:         120
        .size:           8
        .value_kind:     hidden_global_offset_y
      - .offset:         128
        .size:           8
        .value_kind:     hidden_global_offset_z
      - .offset:         136
        .size:           2
        .value_kind:     hidden_grid_dims
    .group_segment_fixed_size: 0
    .kernarg_segment_align: 8
    .kernarg_segment_size: 328
    .language:       OpenCL C
    .language_version:
      - 2
      - 0
    .max_flat_workgroup_size: 1024
    .name:           _ZN9rocsolver6v33100L8copy_matIfPfS2_NS0_7no_maskEEEviiT0_iilT1_iilT2_13rocblas_fill_17rocblas_diagonal_
    .private_segment_fixed_size: 0
    .sgpr_count:     22
    .sgpr_spill_count: 0
    .symbol:         _ZN9rocsolver6v33100L8copy_matIfPfS2_NS0_7no_maskEEEviiT0_iilT1_iilT2_13rocblas_fill_17rocblas_diagonal_.kd
    .uniform_work_group_size: 1
    .uses_dynamic_stack: false
    .vgpr_count:     6
    .vgpr_spill_count: 0
    .wavefront_size: 64
  - .agpr_count:     0
    .args:
      - .offset:         0
        .size:           4
        .value_kind:     by_value
      - .offset:         4
        .size:           4
        .value_kind:     by_value
      - .offset:         8
        .size:           4
        .value_kind:     by_value
      - .address_space:  global
        .offset:         16
        .size:           8
        .value_kind:     global_buffer
      - .offset:         24
        .size:           4
        .value_kind:     by_value
      - .offset:         32
        .size:           8
        .value_kind:     by_value
      - .address_space:  global
        .offset:         40
        .size:           8
        .value_kind:     global_buffer
      - .address_space:  global
        .offset:         48
        .size:           8
        .value_kind:     global_buffer
      - .address_space:  global
        .offset:         56
        .size:           8
        .value_kind:     global_buffer
      - .offset:         64
        .size:           8
        .value_kind:     by_value
      - .address_space:  global
        .offset:         72
        .size:           8
        .value_kind:     global_buffer
      - .offset:         80
        .size:           8
        .value_kind:     by_value
      - .address_space:  global
        .offset:         88
        .size:           8
        .value_kind:     global_buffer
      - .offset:         96
        .size:           8
        .value_kind:     by_value
      - .offset:         104
        .size:           4
        .value_kind:     by_value
      - .offset:         112
        .size:           4
        .value_kind:     hidden_block_count_x
      - .offset:         116
        .size:           4
        .value_kind:     hidden_block_count_y
      - .offset:         120
        .size:           4
        .value_kind:     hidden_block_count_z
      - .offset:         124
        .size:           2
        .value_kind:     hidden_group_size_x
      - .offset:         126
        .size:           2
        .value_kind:     hidden_group_size_y
      - .offset:         128
        .size:           2
        .value_kind:     hidden_group_size_z
      - .offset:         130
        .size:           2
        .value_kind:     hidden_remainder_x
      - .offset:         132
        .size:           2
        .value_kind:     hidden_remainder_y
      - .offset:         134
        .size:           2
        .value_kind:     hidden_remainder_z
      - .offset:         152
        .size:           8
        .value_kind:     hidden_global_offset_x
      - .offset:         160
        .size:           8
        .value_kind:     hidden_global_offset_y
      - .offset:         168
        .size:           8
        .value_kind:     hidden_global_offset_z
      - .offset:         176
        .size:           2
        .value_kind:     hidden_grid_dims
    .group_segment_fixed_size: 0
    .kernarg_segment_align: 8
    .kernarg_segment_size: 368
    .language:       OpenCL C
    .language_version:
      - 2
      - 0
    .max_flat_workgroup_size: 1024
    .name:           _ZN9rocsolver6v33100L18stebz_case1_kernelIfPfEEv15rocblas_erange_T_S4_T0_ilPiS6_PS4_lS6_lS6_li
    .private_segment_fixed_size: 0
    .sgpr_count:     30
    .sgpr_spill_count: 0
    .symbol:         _ZN9rocsolver6v33100L18stebz_case1_kernelIfPfEEv15rocblas_erange_T_S4_T0_ilPiS6_PS4_lS6_lS6_li.kd
    .uniform_work_group_size: 1
    .uses_dynamic_stack: false
    .vgpr_count:     13
    .vgpr_spill_count: 0
    .wavefront_size: 64
  - .agpr_count:     0
    .args:
      - .offset:         0
        .size:           4
        .value_kind:     by_value
      - .offset:         4
        .size:           4
        .value_kind:     by_value
      - .offset:         8
        .size:           4
        .value_kind:     by_value
      - .offset:         12
        .size:           4
        .value_kind:     by_value
      - .offset:         16
        .size:           4
        .value_kind:     by_value
      - .offset:         20
        .size:           4
        .value_kind:     by_value
      - .address_space:  global
        .offset:         24
        .size:           8
        .value_kind:     global_buffer
      - .offset:         32
        .size:           4
        .value_kind:     by_value
      - .offset:         36
        .size:           4
        .value_kind:     by_value
      - .address_space:  global
        .offset:         40
        .size:           8
        .value_kind:     global_buffer
      - .offset:         48
        .size:           4
        .value_kind:     by_value
      - .offset:         52
        .size:           4
        .value_kind:     by_value
      - .address_space:  global
        .offset:         56
        .size:           8
        .value_kind:     global_buffer
      - .address_space:  global
        .offset:         64
        .size:           8
        .value_kind:     global_buffer
      - .offset:         72
        .size:           8
        .value_kind:     by_value
      - .address_space:  global
        .offset:         80
        .size:           8
        .value_kind:     global_buffer
      - .offset:         88
        .size:           8
        .value_kind:     by_value
      - .address_space:  global
        .offset:         96
        .size:           8
        .value_kind:     global_buffer
      - .address_space:  global
        .offset:         104
        .size:           8
        .value_kind:     global_buffer
      - .address_space:  global
        .offset:         112
        .size:           8
        .value_kind:     global_buffer
      - .address_space:  global
        .offset:         120
        .size:           8
        .value_kind:     global_buffer
      - .address_space:  global
        .offset:         128
        .size:           8
        .value_kind:     global_buffer
      - .address_space:  global
        .offset:         136
        .size:           8
        .value_kind:     global_buffer
      - .offset:         144
        .size:           4
        .value_kind:     by_value
      - .offset:         148
        .size:           4
        .value_kind:     by_value
    .group_segment_fixed_size: 2048
    .kernarg_segment_align: 8
    .kernarg_segment_size: 152
    .language:       OpenCL C
    .language_version:
      - 2
      - 0
    .max_flat_workgroup_size: 256
    .name:           _ZN9rocsolver6v33100L22stebz_splitting_kernelIfPfEEv15rocblas_erange_iT_S4_iiT0_iiS5_iiPiPS4_lS6_lS6_S7_S7_S7_S7_S6_S4_S4_
    .private_segment_fixed_size: 0
    .sgpr_count:     62
    .sgpr_spill_count: 0
    .symbol:         _ZN9rocsolver6v33100L22stebz_splitting_kernelIfPfEEv15rocblas_erange_iT_S4_iiT0_iiS5_iiPiPS4_lS6_lS6_S7_S7_S7_S7_S6_S4_S4_.kd
    .uniform_work_group_size: 1
    .uses_dynamic_stack: false
    .vgpr_count:     44
    .vgpr_spill_count: 0
    .wavefront_size: 64
  - .agpr_count:     0
    .args:
      - .offset:         0
        .size:           4
        .value_kind:     by_value
      - .offset:         4
        .size:           4
        .value_kind:     by_value
      - .offset:         8
        .size:           4
        .value_kind:     by_value
      - .address_space:  global
        .offset:         16
        .size:           8
        .value_kind:     global_buffer
      - .offset:         24
        .size:           4
        .value_kind:     by_value
      - .offset:         28
        .size:           4
        .value_kind:     by_value
      - .address_space:  global
        .offset:         32
        .size:           8
        .value_kind:     global_buffer
      - .offset:         40
        .size:           4
        .value_kind:     by_value
      - .offset:         44
        .size:           4
        .value_kind:     by_value
      - .address_space:  global
        .offset:         48
        .size:           8
        .value_kind:     global_buffer
      - .address_space:  global
        .offset:         56
        .size:           8
        .value_kind:     global_buffer
      - .offset:         64
        .size:           8
        .value_kind:     by_value
      - .address_space:  global
        .offset:         72
        .size:           8
        .value_kind:     global_buffer
      - .offset:         80
        .size:           8
        .value_kind:     by_value
      - .address_space:  global
        .offset:         88
        .size:           8
        .value_kind:     global_buffer
      - .offset:         96
        .size:           8
        .value_kind:     by_value
      - .address_space:  global
        .offset:         104
        .size:           8
        .value_kind:     global_buffer
      - .address_space:  global
        .offset:         112
        .size:           8
        .value_kind:     global_buffer
      - .address_space:  global
        .offset:         120
        .size:           8
        .value_kind:     global_buffer
      - .address_space:  global
        .offset:         128
        .size:           8
        .value_kind:     global_buffer
      - .address_space:  global
        .offset:         136
        .size:           8
        .value_kind:     global_buffer
      - .address_space:  global
        .offset:         144
        .size:           8
        .value_kind:     global_buffer
      - .address_space:  global
        .offset:         152
        .size:           8
        .value_kind:     global_buffer
      - .offset:         160
        .size:           4
        .value_kind:     by_value
      - .offset:         164
        .size:           4
        .value_kind:     by_value
    .group_segment_fixed_size: 4616
    .kernarg_segment_align: 8
    .kernarg_segment_size: 168
    .language:       OpenCL C
    .language_version:
      - 2
      - 0
    .max_flat_workgroup_size: 128
    .name:           _ZN9rocsolver6v33100L22stebz_bisection_kernelIfPfEEv15rocblas_erange_iT_T0_iiS5_iiPiPS4_lS6_lS6_lS6_S6_S7_S7_S7_S7_S6_S4_S4_
    .private_segment_fixed_size: 0
    .sgpr_count:     96
    .sgpr_spill_count: 0
    .symbol:         _ZN9rocsolver6v33100L22stebz_bisection_kernelIfPfEEv15rocblas_erange_iT_T0_iiS5_iiPiPS4_lS6_lS6_lS6_S6_S7_S7_S7_S7_S6_S4_S4_.kd
    .uniform_work_group_size: 1
    .uses_dynamic_stack: false
    .vgpr_count:     28
    .vgpr_spill_count: 0
    .wavefront_size: 64
  - .agpr_count:     0
    .args:
      - .offset:         0
        .size:           4
        .value_kind:     by_value
      - .offset:         4
        .size:           4
        .value_kind:     by_value
      - .offset:         8
        .size:           4
        .value_kind:     by_value
      - .offset:         12
        .size:           4
        .value_kind:     by_value
      - .offset:         16
        .size:           4
        .value_kind:     by_value
      - .address_space:  global
        .offset:         24
        .size:           8
        .value_kind:     global_buffer
      - .offset:         32
        .size:           4
        .value_kind:     by_value
      - .offset:         36
        .size:           4
        .value_kind:     by_value
      - .address_space:  global
        .offset:         40
        .size:           8
        .value_kind:     global_buffer
      - .address_space:  global
        .offset:         48
        .size:           8
        .value_kind:     global_buffer
      - .address_space:  global
        .offset:         56
        .size:           8
        .value_kind:     global_buffer
      - .offset:         64
        .size:           8
        .value_kind:     by_value
      - .address_space:  global
        .offset:         72
        .size:           8
        .value_kind:     global_buffer
      - .offset:         80
        .size:           8
        .value_kind:     by_value
      - .address_space:  global
        .offset:         88
        .size:           8
        .value_kind:     global_buffer
      - .offset:         96
        .size:           8
        .value_kind:     by_value
      - .offset:         104
        .size:           4
        .value_kind:     by_value
      - .address_space:  global
        .offset:         112
        .size:           8
        .value_kind:     global_buffer
      - .address_space:  global
        .offset:         120
        .size:           8
        .value_kind:     global_buffer
      - .address_space:  global
        .offset:         128
        .size:           8
        .value_kind:     global_buffer
      - .address_space:  global
        .offset:         136
        .size:           8
        .value_kind:     global_buffer
      - .address_space:  global
        .offset:         144
        .size:           8
        .value_kind:     global_buffer
      - .address_space:  global
        .offset:         152
        .size:           8
        .value_kind:     global_buffer
      - .offset:         160
        .size:           4
        .value_kind:     by_value
      - .offset:         168
        .size:           4
        .value_kind:     hidden_block_count_x
      - .offset:         172
        .size:           4
        .value_kind:     hidden_block_count_y
      - .offset:         176
        .size:           4
        .value_kind:     hidden_block_count_z
      - .offset:         180
        .size:           2
        .value_kind:     hidden_group_size_x
      - .offset:         182
        .size:           2
        .value_kind:     hidden_group_size_y
      - .offset:         184
        .size:           2
        .value_kind:     hidden_group_size_z
      - .offset:         186
        .size:           2
        .value_kind:     hidden_remainder_x
      - .offset:         188
        .size:           2
        .value_kind:     hidden_remainder_y
      - .offset:         190
        .size:           2
        .value_kind:     hidden_remainder_z
      - .offset:         208
        .size:           8
        .value_kind:     hidden_global_offset_x
      - .offset:         216
        .size:           8
        .value_kind:     hidden_global_offset_y
      - .offset:         224
        .size:           8
        .value_kind:     hidden_global_offset_z
      - .offset:         232
        .size:           2
        .value_kind:     hidden_grid_dims
    .group_segment_fixed_size: 0
    .kernarg_segment_align: 8
    .kernarg_segment_size: 424
    .language:       OpenCL C
    .language_version:
      - 2
      - 0
    .max_flat_workgroup_size: 1024
    .name:           _ZN9rocsolver6v33100L22stebz_synthesis_kernelIfPfEEv15rocblas_erange_15rocblas_eorder_iiiT0_iiPiS6_PT_lS6_lS6_liS6_S8_S8_S8_S8_S6_S7_
    .private_segment_fixed_size: 0
    .sgpr_count:     42
    .sgpr_spill_count: 0
    .symbol:         _ZN9rocsolver6v33100L22stebz_synthesis_kernelIfPfEEv15rocblas_erange_15rocblas_eorder_iiiT0_iiPiS6_PT_lS6_lS6_liS6_S8_S8_S8_S8_S6_S7_.kd
    .uniform_work_group_size: 1
    .uses_dynamic_stack: false
    .vgpr_count:     43
    .vgpr_spill_count: 0
    .wavefront_size: 64
  - .agpr_count:     0
    .args:
      - .offset:         0
        .size:           4
        .value_kind:     by_value
      - .address_space:  global
        .offset:         8
        .size:           8
        .value_kind:     global_buffer
      - .address_space:  global
        .offset:         16
        .size:           8
        .value_kind:     global_buffer
      - .offset:         24
        .size:           8
        .value_kind:     by_value
      - .address_space:  global
        .offset:         32
        .size:           8
        .value_kind:     global_buffer
      - .offset:         40
        .size:           4
        .value_kind:     hidden_block_count_x
      - .offset:         44
        .size:           4
        .value_kind:     hidden_block_count_y
      - .offset:         48
        .size:           4
        .value_kind:     hidden_block_count_z
      - .offset:         52
        .size:           2
        .value_kind:     hidden_group_size_x
      - .offset:         54
        .size:           2
        .value_kind:     hidden_group_size_y
      - .offset:         56
        .size:           2
        .value_kind:     hidden_group_size_z
      - .offset:         58
        .size:           2
        .value_kind:     hidden_remainder_x
      - .offset:         60
        .size:           2
        .value_kind:     hidden_remainder_y
      - .offset:         62
        .size:           2
        .value_kind:     hidden_remainder_z
      - .offset:         80
        .size:           8
        .value_kind:     hidden_global_offset_x
      - .offset:         88
        .size:           8
        .value_kind:     hidden_global_offset_y
      - .offset:         96
        .size:           8
        .value_kind:     hidden_global_offset_z
      - .offset:         104
        .size:           2
        .value_kind:     hidden_grid_dims
    .group_segment_fixed_size: 0
    .kernarg_segment_align: 8
    .kernarg_segment_size: 296
    .language:       OpenCL C
    .language_version:
      - 2
      - 0
    .max_flat_workgroup_size: 1024
    .name:           _ZN9rocsolver6v33100L15bdsvdx_abs_eigsIfEEviPiPT_lS4_
    .private_segment_fixed_size: 0
    .sgpr_count:     22
    .sgpr_spill_count: 0
    .symbol:         _ZN9rocsolver6v33100L15bdsvdx_abs_eigsIfEEviPiPT_lS4_.kd
    .uniform_work_group_size: 1
    .uses_dynamic_stack: false
    .vgpr_count:     4
    .vgpr_spill_count: 0
    .wavefront_size: 64
  - .agpr_count:     0
    .args:
      - .offset:         0
        .size:           4
        .value_kind:     by_value
      - .address_space:  global
        .offset:         8
        .size:           8
        .value_kind:     global_buffer
      - .offset:         16
        .size:           8
        .value_kind:     by_value
      - .address_space:  global
        .offset:         24
        .size:           8
        .value_kind:     global_buffer
      - .offset:         32
        .size:           8
        .value_kind:     by_value
      - .address_space:  global
        .offset:         40
        .size:           8
        .value_kind:     global_buffer
      - .address_space:  global
        .offset:         48
        .size:           8
        .value_kind:     global_buffer
      - .offset:         56
        .size:           8
        .value_kind:     by_value
      - .address_space:  global
        .offset:         64
        .size:           8
        .value_kind:     global_buffer
      - .offset:         72
        .size:           8
        .value_kind:     by_value
      - .address_space:  global
        .offset:         80
        .size:           8
        .value_kind:     global_buffer
      - .offset:         88
        .size:           8
        .value_kind:     by_value
      - .address_space:  global
        .offset:         96
        .size:           8
        .value_kind:     global_buffer
      - .offset:         104
        .size:           4
        .value_kind:     by_value
      - .offset:         108
        .size:           4
        .value_kind:     by_value
      - .offset:         112
        .size:           8
        .value_kind:     by_value
      - .address_space:  global
        .offset:         120
        .size:           8
        .value_kind:     global_buffer
      - .offset:         128
        .size:           8
        .value_kind:     by_value
      - .address_space:  global
        .offset:         136
        .size:           8
        .value_kind:     global_buffer
      - .address_space:  global
        .offset:         144
        .size:           8
        .value_kind:     global_buffer
      - .address_space:  global
        .offset:         152
        .size:           8
        .value_kind:     global_buffer
      - .offset:         160
        .size:           4
        .value_kind:     by_value
      - .offset:         164
        .size:           4
        .value_kind:     by_value
    .group_segment_fixed_size: 8
    .kernarg_segment_align: 8
    .kernarg_segment_size: 168
    .language:       OpenCL C
    .language_version:
      - 2
      - 0
    .max_flat_workgroup_size: 256
    .name:           _ZN9rocsolver6v33100L12stein_kernelIffPfEEviPT0_lS4_lPiS4_lS5_lS5_lT1_iilS5_lS5_S4_S5_S3_S3_
    .private_segment_fixed_size: 0
    .sgpr_count:     106
    .sgpr_spill_count: 27
    .symbol:         _ZN9rocsolver6v33100L12stein_kernelIffPfEEviPT0_lS4_lPiS4_lS5_lS5_lT1_iilS5_lS5_S4_S5_S3_S3_.kd
    .uniform_work_group_size: 1
    .uses_dynamic_stack: false
    .vgpr_count:     49
    .vgpr_spill_count: 0
    .wavefront_size: 64
  - .agpr_count:     0
    .args:
      - .offset:         0
        .size:           4
        .value_kind:     by_value
      - .address_space:  global
        .offset:         8
        .size:           8
        .value_kind:     global_buffer
      - .address_space:  global
        .offset:         16
        .size:           8
        .value_kind:     global_buffer
      - .offset:         24
        .size:           8
        .value_kind:     by_value
      - .address_space:  global
        .offset:         32
        .size:           8
        .value_kind:     global_buffer
      - .offset:         40
        .size:           4
        .value_kind:     by_value
      - .offset:         44
        .size:           4
        .value_kind:     by_value
      - .offset:         48
        .size:           8
        .value_kind:     by_value
      - .address_space:  global
        .offset:         56
        .size:           8
        .value_kind:     global_buffer
      - .offset:         64
        .size:           8
        .value_kind:     by_value
      - .address_space:  global
        .offset:         72
        .size:           8
        .value_kind:     global_buffer
      - .address_space:  global
        .offset:         80
        .size:           8
        .value_kind:     global_buffer
      - .offset:         88
        .size:           4
        .value_kind:     hidden_block_count_x
      - .offset:         92
        .size:           4
        .value_kind:     hidden_block_count_y
      - .offset:         96
        .size:           4
        .value_kind:     hidden_block_count_z
      - .offset:         100
        .size:           2
        .value_kind:     hidden_group_size_x
      - .offset:         102
        .size:           2
        .value_kind:     hidden_group_size_y
      - .offset:         104
        .size:           2
        .value_kind:     hidden_group_size_z
      - .offset:         106
        .size:           2
        .value_kind:     hidden_remainder_x
      - .offset:         108
        .size:           2
        .value_kind:     hidden_remainder_y
      - .offset:         110
        .size:           2
        .value_kind:     hidden_remainder_z
      - .offset:         128
        .size:           8
        .value_kind:     hidden_global_offset_x
      - .offset:         136
        .size:           8
        .value_kind:     hidden_global_offset_y
      - .offset:         144
        .size:           8
        .value_kind:     hidden_global_offset_z
      - .offset:         152
        .size:           2
        .value_kind:     hidden_grid_dims
      - .offset:         168
        .size:           8
        .value_kind:     hidden_hostcall_buffer
    .group_segment_fixed_size: 0
    .kernarg_segment_align: 8
    .kernarg_segment_size: 344
    .language:       OpenCL C
    .language_version:
      - 2
      - 0
    .max_flat_workgroup_size: 256
    .name:           _ZN9rocsolver6v33100L15syevx_sort_eigsIffPfEEviPiPT0_lT1_iilS3_lS3_S3_
    .private_segment_fixed_size: 64
    .sgpr_count:     58
    .sgpr_spill_count: 0
    .symbol:         _ZN9rocsolver6v33100L15syevx_sort_eigsIffPfEEviPiPT0_lT1_iilS3_lS3_S3_.kd
    .uniform_work_group_size: 1
    .uses_dynamic_stack: false
    .vgpr_count:     54
    .vgpr_spill_count: 0
    .wavefront_size: 64
  - .agpr_count:     0
    .args:
      - .offset:         0
        .size:           4
        .value_kind:     by_value
      - .offset:         4
        .size:           4
        .value_kind:     by_value
      - .address_space:  global
        .offset:         8
        .size:           8
        .value_kind:     global_buffer
      - .address_space:  global
        .offset:         16
        .size:           8
        .value_kind:     global_buffer
      - .offset:         24
        .size:           8
        .value_kind:     by_value
      - .address_space:  global
        .offset:         32
        .size:           8
        .value_kind:     global_buffer
      - .offset:         40
        .size:           4
        .value_kind:     by_value
      - .offset:         44
        .size:           4
        .value_kind:     by_value
      - .offset:         48
        .size:           8
        .value_kind:     by_value
      - .address_space:  global
        .offset:         56
        .size:           8
        .value_kind:     global_buffer
      - .offset:         64
        .size:           4
        .value_kind:     hidden_block_count_x
      - .offset:         68
        .size:           4
        .value_kind:     hidden_block_count_y
      - .offset:         72
        .size:           4
        .value_kind:     hidden_block_count_z
      - .offset:         76
        .size:           2
        .value_kind:     hidden_group_size_x
      - .offset:         78
        .size:           2
        .value_kind:     hidden_group_size_y
      - .offset:         80
        .size:           2
        .value_kind:     hidden_group_size_z
      - .offset:         82
        .size:           2
        .value_kind:     hidden_remainder_x
      - .offset:         84
        .size:           2
        .value_kind:     hidden_remainder_y
      - .offset:         86
        .size:           2
        .value_kind:     hidden_remainder_z
      - .offset:         104
        .size:           8
        .value_kind:     hidden_global_offset_x
      - .offset:         112
        .size:           8
        .value_kind:     hidden_global_offset_y
      - .offset:         120
        .size:           8
        .value_kind:     hidden_global_offset_z
      - .offset:         128
        .size:           2
        .value_kind:     hidden_grid_dims
    .group_segment_fixed_size: 0
    .kernarg_segment_align: 8
    .kernarg_segment_size: 320
    .language:       OpenCL C
    .language_version:
      - 2
      - 0
    .max_flat_workgroup_size: 1024
    .name:           _ZN9rocsolver6v33100L19bdsvdx_reorder_vectIfPfEEv13rocblas_fill_iPiPT_lT0_iilS6_
    .private_segment_fixed_size: 0
    .sgpr_count:     31
    .sgpr_spill_count: 0
    .symbol:         _ZN9rocsolver6v33100L19bdsvdx_reorder_vectIfPfEEv13rocblas_fill_iPiPT_lT0_iilS6_.kd
    .uniform_work_group_size: 1
    .uses_dynamic_stack: false
    .vgpr_count:     10
    .vgpr_spill_count: 0
    .wavefront_size: 64
  - .agpr_count:     0
    .args:
      - .address_space:  global
        .offset:         0
        .size:           8
        .value_kind:     global_buffer
      - .offset:         8
        .size:           4
        .value_kind:     by_value
      - .offset:         12
        .size:           4
        .value_kind:     by_value
      - .offset:         16
        .size:           4
        .value_kind:     by_value
      - .offset:         24
        .size:           4
        .value_kind:     hidden_block_count_x
      - .offset:         28
        .size:           4
        .value_kind:     hidden_block_count_y
      - .offset:         32
        .size:           4
        .value_kind:     hidden_block_count_z
      - .offset:         36
        .size:           2
        .value_kind:     hidden_group_size_x
      - .offset:         38
        .size:           2
        .value_kind:     hidden_group_size_y
      - .offset:         40
        .size:           2
        .value_kind:     hidden_group_size_z
      - .offset:         42
        .size:           2
        .value_kind:     hidden_remainder_x
      - .offset:         44
        .size:           2
        .value_kind:     hidden_remainder_y
      - .offset:         46
        .size:           2
        .value_kind:     hidden_remainder_z
      - .offset:         64
        .size:           8
        .value_kind:     hidden_global_offset_x
      - .offset:         72
        .size:           8
        .value_kind:     hidden_global_offset_y
      - .offset:         80
        .size:           8
        .value_kind:     hidden_global_offset_z
      - .offset:         88
        .size:           2
        .value_kind:     hidden_grid_dims
    .group_segment_fixed_size: 0
    .kernarg_segment_align: 8
    .kernarg_segment_size: 280
    .language:       OpenCL C
    .language_version:
      - 2
      - 0
    .max_flat_workgroup_size: 1024
    .name:           _ZN9rocsolver6v33100L10reset_infoIdiiEEvPT_T0_T1_S4_
    .private_segment_fixed_size: 0
    .sgpr_count:     14
    .sgpr_spill_count: 0
    .symbol:         _ZN9rocsolver6v33100L10reset_infoIdiiEEvPT_T0_T1_S4_.kd
    .uniform_work_group_size: 1
    .uses_dynamic_stack: false
    .vgpr_count:     6
    .vgpr_spill_count: 0
    .wavefront_size: 64
  - .agpr_count:     0
    .args:
      - .offset:         0
        .size:           4
        .value_kind:     by_value
      - .offset:         4
        .size:           4
        .value_kind:     by_value
      - .address_space:  global
        .offset:         8
        .size:           8
        .value_kind:     global_buffer
      - .offset:         16
        .size:           4
        .value_kind:     by_value
      - .offset:         20
        .size:           4
        .value_kind:     by_value
      - .offset:         24
        .size:           8
        .value_kind:     by_value
      - .address_space:  global
        .offset:         32
        .size:           8
        .value_kind:     global_buffer
      - .offset:         40
        .size:           4
        .value_kind:     by_value
      - .offset:         44
        .size:           4
        .value_kind:     by_value
      - .offset:         48
        .size:           8
        .value_kind:     by_value
      - .offset:         56
        .size:           1
        .value_kind:     by_value
      - .offset:         60
        .size:           4
        .value_kind:     by_value
      - .offset:         64
        .size:           4
        .value_kind:     by_value
      - .offset:         72
        .size:           4
        .value_kind:     hidden_block_count_x
      - .offset:         76
        .size:           4
        .value_kind:     hidden_block_count_y
      - .offset:         80
        .size:           4
        .value_kind:     hidden_block_count_z
      - .offset:         84
        .size:           2
        .value_kind:     hidden_group_size_x
      - .offset:         86
        .size:           2
        .value_kind:     hidden_group_size_y
      - .offset:         88
        .size:           2
        .value_kind:     hidden_group_size_z
      - .offset:         90
        .size:           2
        .value_kind:     hidden_remainder_x
      - .offset:         92
        .size:           2
        .value_kind:     hidden_remainder_y
      - .offset:         94
        .size:           2
        .value_kind:     hidden_remainder_z
      - .offset:         112
        .size:           8
        .value_kind:     hidden_global_offset_x
      - .offset:         120
        .size:           8
        .value_kind:     hidden_global_offset_y
      - .offset:         128
        .size:           8
        .value_kind:     hidden_global_offset_z
      - .offset:         136
        .size:           2
        .value_kind:     hidden_grid_dims
    .group_segment_fixed_size: 0
    .kernarg_segment_align: 8
    .kernarg_segment_size: 328
    .language:       OpenCL C
    .language_version:
      - 2
      - 0
    .max_flat_workgroup_size: 1024
    .name:           _ZN9rocsolver6v33100L8copy_matIdPdS2_NS0_7no_maskEEEviiT0_iilT1_iilT2_13rocblas_fill_17rocblas_diagonal_
    .private_segment_fixed_size: 0
    .sgpr_count:     22
    .sgpr_spill_count: 0
    .symbol:         _ZN9rocsolver6v33100L8copy_matIdPdS2_NS0_7no_maskEEEviiT0_iilT1_iilT2_13rocblas_fill_17rocblas_diagonal_.kd
    .uniform_work_group_size: 1
    .uses_dynamic_stack: false
    .vgpr_count:     6
    .vgpr_spill_count: 0
    .wavefront_size: 64
  - .agpr_count:     0
    .args:
      - .offset:         0
        .size:           4
        .value_kind:     by_value
      - .offset:         8
        .size:           8
        .value_kind:     by_value
      - .offset:         16
        .size:           8
        .value_kind:     by_value
      - .address_space:  global
        .offset:         24
        .size:           8
        .value_kind:     global_buffer
      - .offset:         32
        .size:           4
        .value_kind:     by_value
      - .offset:         40
        .size:           8
        .value_kind:     by_value
      - .address_space:  global
        .offset:         48
        .size:           8
        .value_kind:     global_buffer
      - .address_space:  global
        .offset:         56
        .size:           8
        .value_kind:     global_buffer
      - .address_space:  global
        .offset:         64
        .size:           8
        .value_kind:     global_buffer
      - .offset:         72
        .size:           8
        .value_kind:     by_value
      - .address_space:  global
        .offset:         80
        .size:           8
        .value_kind:     global_buffer
      - .offset:         88
        .size:           8
        .value_kind:     by_value
      - .address_space:  global
        .offset:         96
        .size:           8
        .value_kind:     global_buffer
      - .offset:         104
        .size:           8
        .value_kind:     by_value
      - .offset:         112
        .size:           4
        .value_kind:     by_value
      - .offset:         120
        .size:           4
        .value_kind:     hidden_block_count_x
      - .offset:         124
        .size:           4
        .value_kind:     hidden_block_count_y
      - .offset:         128
        .size:           4
        .value_kind:     hidden_block_count_z
      - .offset:         132
        .size:           2
        .value_kind:     hidden_group_size_x
      - .offset:         134
        .size:           2
        .value_kind:     hidden_group_size_y
      - .offset:         136
        .size:           2
        .value_kind:     hidden_group_size_z
      - .offset:         138
        .size:           2
        .value_kind:     hidden_remainder_x
      - .offset:         140
        .size:           2
        .value_kind:     hidden_remainder_y
      - .offset:         142
        .size:           2
        .value_kind:     hidden_remainder_z
      - .offset:         160
        .size:           8
        .value_kind:     hidden_global_offset_x
      - .offset:         168
        .size:           8
        .value_kind:     hidden_global_offset_y
      - .offset:         176
        .size:           8
        .value_kind:     hidden_global_offset_z
      - .offset:         184
        .size:           2
        .value_kind:     hidden_grid_dims
    .group_segment_fixed_size: 0
    .kernarg_segment_align: 8
    .kernarg_segment_size: 376
    .language:       OpenCL C
    .language_version:
      - 2
      - 0
    .max_flat_workgroup_size: 1024
    .name:           _ZN9rocsolver6v33100L18stebz_case1_kernelIdPdEEv15rocblas_erange_T_S4_T0_ilPiS6_PS4_lS6_lS6_li
    .private_segment_fixed_size: 0
    .sgpr_count:     30
    .sgpr_spill_count: 0
    .symbol:         _ZN9rocsolver6v33100L18stebz_case1_kernelIdPdEEv15rocblas_erange_T_S4_T0_ilPiS6_PS4_lS6_lS6_li.kd
    .uniform_work_group_size: 1
    .uses_dynamic_stack: false
    .vgpr_count:     14
    .vgpr_spill_count: 0
    .wavefront_size: 64
  - .agpr_count:     0
    .args:
      - .offset:         0
        .size:           4
        .value_kind:     by_value
      - .offset:         4
        .size:           4
        .value_kind:     by_value
      - .offset:         8
        .size:           8
        .value_kind:     by_value
      - .offset:         16
        .size:           8
        .value_kind:     by_value
      - .offset:         24
        .size:           4
        .value_kind:     by_value
      - .offset:         28
        .size:           4
        .value_kind:     by_value
      - .address_space:  global
        .offset:         32
        .size:           8
        .value_kind:     global_buffer
      - .offset:         40
        .size:           4
        .value_kind:     by_value
      - .offset:         44
        .size:           4
        .value_kind:     by_value
      - .address_space:  global
        .offset:         48
        .size:           8
        .value_kind:     global_buffer
      - .offset:         56
        .size:           4
        .value_kind:     by_value
      - .offset:         60
        .size:           4
        .value_kind:     by_value
      - .address_space:  global
        .offset:         64
        .size:           8
        .value_kind:     global_buffer
      - .address_space:  global
        .offset:         72
        .size:           8
        .value_kind:     global_buffer
      - .offset:         80
        .size:           8
        .value_kind:     by_value
      - .address_space:  global
        .offset:         88
        .size:           8
        .value_kind:     global_buffer
      - .offset:         96
        .size:           8
        .value_kind:     by_value
      - .address_space:  global
        .offset:         104
        .size:           8
        .value_kind:     global_buffer
      - .address_space:  global
        .offset:         112
        .size:           8
        .value_kind:     global_buffer
      - .address_space:  global
        .offset:         120
        .size:           8
        .value_kind:     global_buffer
      - .address_space:  global
        .offset:         128
        .size:           8
        .value_kind:     global_buffer
      - .address_space:  global
        .offset:         136
        .size:           8
        .value_kind:     global_buffer
      - .address_space:  global
        .offset:         144
        .size:           8
        .value_kind:     global_buffer
      - .offset:         152
        .size:           8
        .value_kind:     by_value
      - .offset:         160
        .size:           8
        .value_kind:     by_value
    .group_segment_fixed_size: 3072
    .kernarg_segment_align: 8
    .kernarg_segment_size: 168
    .language:       OpenCL C
    .language_version:
      - 2
      - 0
    .max_flat_workgroup_size: 256
    .name:           _ZN9rocsolver6v33100L22stebz_splitting_kernelIdPdEEv15rocblas_erange_iT_S4_iiT0_iiS5_iiPiPS4_lS6_lS6_S7_S7_S7_S7_S6_S4_S4_
    .private_segment_fixed_size: 0
    .sgpr_count:     64
    .sgpr_spill_count: 0
    .symbol:         _ZN9rocsolver6v33100L22stebz_splitting_kernelIdPdEEv15rocblas_erange_iT_S4_iiT0_iiS5_iiPiPS4_lS6_lS6_S7_S7_S7_S7_S6_S4_S4_.kd
    .uniform_work_group_size: 1
    .uses_dynamic_stack: false
    .vgpr_count:     44
    .vgpr_spill_count: 0
    .wavefront_size: 64
  - .agpr_count:     0
    .args:
      - .offset:         0
        .size:           4
        .value_kind:     by_value
      - .offset:         4
        .size:           4
        .value_kind:     by_value
      - .offset:         8
        .size:           8
        .value_kind:     by_value
      - .address_space:  global
        .offset:         16
        .size:           8
        .value_kind:     global_buffer
      - .offset:         24
        .size:           4
        .value_kind:     by_value
      - .offset:         28
        .size:           4
        .value_kind:     by_value
      - .address_space:  global
        .offset:         32
        .size:           8
        .value_kind:     global_buffer
      - .offset:         40
        .size:           4
        .value_kind:     by_value
      - .offset:         44
        .size:           4
        .value_kind:     by_value
      - .address_space:  global
        .offset:         48
        .size:           8
        .value_kind:     global_buffer
      - .address_space:  global
        .offset:         56
        .size:           8
        .value_kind:     global_buffer
      - .offset:         64
        .size:           8
        .value_kind:     by_value
      - .address_space:  global
        .offset:         72
        .size:           8
        .value_kind:     global_buffer
      - .offset:         80
        .size:           8
        .value_kind:     by_value
      - .address_space:  global
        .offset:         88
        .size:           8
        .value_kind:     global_buffer
      - .offset:         96
        .size:           8
        .value_kind:     by_value
      - .address_space:  global
        .offset:         104
        .size:           8
        .value_kind:     global_buffer
      - .address_space:  global
        .offset:         112
        .size:           8
        .value_kind:     global_buffer
      - .address_space:  global
        .offset:         120
        .size:           8
        .value_kind:     global_buffer
      - .address_space:  global
        .offset:         128
        .size:           8
        .value_kind:     global_buffer
      - .address_space:  global
        .offset:         136
        .size:           8
        .value_kind:     global_buffer
      - .address_space:  global
        .offset:         144
        .size:           8
        .value_kind:     global_buffer
      - .address_space:  global
        .offset:         152
        .size:           8
        .value_kind:     global_buffer
      - .offset:         160
        .size:           8
        .value_kind:     by_value
      - .offset:         168
        .size:           8
        .value_kind:     by_value
    .group_segment_fixed_size: 6664
    .kernarg_segment_align: 8
    .kernarg_segment_size: 176
    .language:       OpenCL C
    .language_version:
      - 2
      - 0
    .max_flat_workgroup_size: 128
    .name:           _ZN9rocsolver6v33100L22stebz_bisection_kernelIdPdEEv15rocblas_erange_iT_T0_iiS5_iiPiPS4_lS6_lS6_lS6_S6_S7_S7_S7_S7_S6_S4_S4_
    .private_segment_fixed_size: 0
    .sgpr_count:     102
    .sgpr_spill_count: 0
    .symbol:         _ZN9rocsolver6v33100L22stebz_bisection_kernelIdPdEEv15rocblas_erange_iT_T0_iiS5_iiPiPS4_lS6_lS6_lS6_S6_S7_S7_S7_S7_S6_S4_S4_.kd
    .uniform_work_group_size: 1
    .uses_dynamic_stack: false
    .vgpr_count:     54
    .vgpr_spill_count: 0
    .wavefront_size: 64
  - .agpr_count:     0
    .args:
      - .offset:         0
        .size:           4
        .value_kind:     by_value
      - .offset:         4
        .size:           4
        .value_kind:     by_value
      - .offset:         8
        .size:           4
        .value_kind:     by_value
      - .offset:         12
        .size:           4
        .value_kind:     by_value
      - .offset:         16
        .size:           4
        .value_kind:     by_value
      - .address_space:  global
        .offset:         24
        .size:           8
        .value_kind:     global_buffer
      - .offset:         32
        .size:           4
        .value_kind:     by_value
      - .offset:         36
        .size:           4
        .value_kind:     by_value
      - .address_space:  global
        .offset:         40
        .size:           8
        .value_kind:     global_buffer
      - .address_space:  global
        .offset:         48
        .size:           8
        .value_kind:     global_buffer
      - .address_space:  global
        .offset:         56
        .size:           8
        .value_kind:     global_buffer
      - .offset:         64
        .size:           8
        .value_kind:     by_value
      - .address_space:  global
        .offset:         72
        .size:           8
        .value_kind:     global_buffer
      - .offset:         80
        .size:           8
        .value_kind:     by_value
      - .address_space:  global
        .offset:         88
        .size:           8
        .value_kind:     global_buffer
      - .offset:         96
        .size:           8
        .value_kind:     by_value
      - .offset:         104
        .size:           4
        .value_kind:     by_value
      - .address_space:  global
        .offset:         112
        .size:           8
        .value_kind:     global_buffer
      - .address_space:  global
        .offset:         120
        .size:           8
        .value_kind:     global_buffer
      - .address_space:  global
        .offset:         128
        .size:           8
        .value_kind:     global_buffer
      - .address_space:  global
        .offset:         136
        .size:           8
        .value_kind:     global_buffer
      - .address_space:  global
        .offset:         144
        .size:           8
        .value_kind:     global_buffer
      - .address_space:  global
        .offset:         152
        .size:           8
        .value_kind:     global_buffer
      - .offset:         160
        .size:           8
        .value_kind:     by_value
      - .offset:         168
        .size:           4
        .value_kind:     hidden_block_count_x
      - .offset:         172
        .size:           4
        .value_kind:     hidden_block_count_y
      - .offset:         176
        .size:           4
        .value_kind:     hidden_block_count_z
      - .offset:         180
        .size:           2
        .value_kind:     hidden_group_size_x
      - .offset:         182
        .size:           2
        .value_kind:     hidden_group_size_y
      - .offset:         184
        .size:           2
        .value_kind:     hidden_group_size_z
      - .offset:         186
        .size:           2
        .value_kind:     hidden_remainder_x
      - .offset:         188
        .size:           2
        .value_kind:     hidden_remainder_y
      - .offset:         190
        .size:           2
        .value_kind:     hidden_remainder_z
      - .offset:         208
        .size:           8
        .value_kind:     hidden_global_offset_x
      - .offset:         216
        .size:           8
        .value_kind:     hidden_global_offset_y
      - .offset:         224
        .size:           8
        .value_kind:     hidden_global_offset_z
      - .offset:         232
        .size:           2
        .value_kind:     hidden_grid_dims
    .group_segment_fixed_size: 0
    .kernarg_segment_align: 8
    .kernarg_segment_size: 424
    .language:       OpenCL C
    .language_version:
      - 2
      - 0
    .max_flat_workgroup_size: 1024
    .name:           _ZN9rocsolver6v33100L22stebz_synthesis_kernelIdPdEEv15rocblas_erange_15rocblas_eorder_iiiT0_iiPiS6_PT_lS6_lS6_liS6_S8_S8_S8_S8_S6_S7_
    .private_segment_fixed_size: 0
    .sgpr_count:     40
    .sgpr_spill_count: 0
    .symbol:         _ZN9rocsolver6v33100L22stebz_synthesis_kernelIdPdEEv15rocblas_erange_15rocblas_eorder_iiiT0_iiPiS6_PT_lS6_lS6_liS6_S8_S8_S8_S8_S6_S7_.kd
    .uniform_work_group_size: 1
    .uses_dynamic_stack: false
    .vgpr_count:     50
    .vgpr_spill_count: 0
    .wavefront_size: 64
  - .agpr_count:     0
    .args:
      - .offset:         0
        .size:           4
        .value_kind:     by_value
      - .address_space:  global
        .offset:         8
        .size:           8
        .value_kind:     global_buffer
      - .address_space:  global
        .offset:         16
        .size:           8
        .value_kind:     global_buffer
      - .offset:         24
        .size:           8
        .value_kind:     by_value
      - .address_space:  global
        .offset:         32
        .size:           8
        .value_kind:     global_buffer
      - .offset:         40
        .size:           4
        .value_kind:     hidden_block_count_x
      - .offset:         44
        .size:           4
        .value_kind:     hidden_block_count_y
      - .offset:         48
        .size:           4
        .value_kind:     hidden_block_count_z
      - .offset:         52
        .size:           2
        .value_kind:     hidden_group_size_x
      - .offset:         54
        .size:           2
        .value_kind:     hidden_group_size_y
      - .offset:         56
        .size:           2
        .value_kind:     hidden_group_size_z
      - .offset:         58
        .size:           2
        .value_kind:     hidden_remainder_x
      - .offset:         60
        .size:           2
        .value_kind:     hidden_remainder_y
      - .offset:         62
        .size:           2
        .value_kind:     hidden_remainder_z
      - .offset:         80
        .size:           8
        .value_kind:     hidden_global_offset_x
      - .offset:         88
        .size:           8
        .value_kind:     hidden_global_offset_y
      - .offset:         96
        .size:           8
        .value_kind:     hidden_global_offset_z
      - .offset:         104
        .size:           2
        .value_kind:     hidden_grid_dims
    .group_segment_fixed_size: 0
    .kernarg_segment_align: 8
    .kernarg_segment_size: 296
    .language:       OpenCL C
    .language_version:
      - 2
      - 0
    .max_flat_workgroup_size: 1024
    .name:           _ZN9rocsolver6v33100L15bdsvdx_abs_eigsIdEEviPiPT_lS4_
    .private_segment_fixed_size: 0
    .sgpr_count:     22
    .sgpr_spill_count: 0
    .symbol:         _ZN9rocsolver6v33100L15bdsvdx_abs_eigsIdEEviPiPT_lS4_.kd
    .uniform_work_group_size: 1
    .uses_dynamic_stack: false
    .vgpr_count:     4
    .vgpr_spill_count: 0
    .wavefront_size: 64
  - .agpr_count:     0
    .args:
      - .offset:         0
        .size:           4
        .value_kind:     by_value
      - .address_space:  global
        .offset:         8
        .size:           8
        .value_kind:     global_buffer
      - .offset:         16
        .size:           8
        .value_kind:     by_value
      - .address_space:  global
        .offset:         24
        .size:           8
        .value_kind:     global_buffer
      - .offset:         32
        .size:           8
        .value_kind:     by_value
      - .address_space:  global
        .offset:         40
        .size:           8
        .value_kind:     global_buffer
      - .address_space:  global
        .offset:         48
        .size:           8
        .value_kind:     global_buffer
      - .offset:         56
        .size:           8
        .value_kind:     by_value
      - .address_space:  global
        .offset:         64
        .size:           8
        .value_kind:     global_buffer
      - .offset:         72
        .size:           8
        .value_kind:     by_value
      - .address_space:  global
        .offset:         80
        .size:           8
        .value_kind:     global_buffer
      - .offset:         88
        .size:           8
        .value_kind:     by_value
      - .address_space:  global
        .offset:         96
        .size:           8
        .value_kind:     global_buffer
      - .offset:         104
        .size:           4
        .value_kind:     by_value
      - .offset:         108
        .size:           4
        .value_kind:     by_value
      - .offset:         112
        .size:           8
        .value_kind:     by_value
      - .address_space:  global
        .offset:         120
        .size:           8
        .value_kind:     global_buffer
      - .offset:         128
        .size:           8
        .value_kind:     by_value
      - .address_space:  global
        .offset:         136
        .size:           8
        .value_kind:     global_buffer
      - .address_space:  global
        .offset:         144
        .size:           8
        .value_kind:     global_buffer
      - .address_space:  global
        .offset:         152
        .size:           8
        .value_kind:     global_buffer
      - .offset:         160
        .size:           8
        .value_kind:     by_value
      - .offset:         168
        .size:           8
        .value_kind:     by_value
    .group_segment_fixed_size: 8
    .kernarg_segment_align: 8
    .kernarg_segment_size: 176
    .language:       OpenCL C
    .language_version:
      - 2
      - 0
    .max_flat_workgroup_size: 256
    .name:           _ZN9rocsolver6v33100L12stein_kernelIddPdEEviPT0_lS4_lPiS4_lS5_lS5_lT1_iilS5_lS5_S4_S5_S3_S3_
    .private_segment_fixed_size: 0
    .sgpr_count:     106
    .sgpr_spill_count: 34
    .symbol:         _ZN9rocsolver6v33100L12stein_kernelIddPdEEviPT0_lS4_lPiS4_lS5_lS5_lT1_iilS5_lS5_S4_S5_S3_S3_.kd
    .uniform_work_group_size: 1
    .uses_dynamic_stack: false
    .vgpr_count:     65
    .vgpr_spill_count: 0
    .wavefront_size: 64
  - .agpr_count:     0
    .args:
      - .offset:         0
        .size:           4
        .value_kind:     by_value
      - .address_space:  global
        .offset:         8
        .size:           8
        .value_kind:     global_buffer
      - .address_space:  global
        .offset:         16
        .size:           8
        .value_kind:     global_buffer
      - .offset:         24
        .size:           8
        .value_kind:     by_value
      - .address_space:  global
        .offset:         32
        .size:           8
        .value_kind:     global_buffer
      - .offset:         40
        .size:           4
        .value_kind:     by_value
      - .offset:         44
        .size:           4
        .value_kind:     by_value
      - .offset:         48
        .size:           8
        .value_kind:     by_value
      - .address_space:  global
        .offset:         56
        .size:           8
        .value_kind:     global_buffer
      - .offset:         64
        .size:           8
        .value_kind:     by_value
      - .address_space:  global
        .offset:         72
        .size:           8
        .value_kind:     global_buffer
      - .address_space:  global
        .offset:         80
        .size:           8
        .value_kind:     global_buffer
      - .offset:         88
        .size:           4
        .value_kind:     hidden_block_count_x
      - .offset:         92
        .size:           4
        .value_kind:     hidden_block_count_y
      - .offset:         96
        .size:           4
        .value_kind:     hidden_block_count_z
      - .offset:         100
        .size:           2
        .value_kind:     hidden_group_size_x
      - .offset:         102
        .size:           2
        .value_kind:     hidden_group_size_y
      - .offset:         104
        .size:           2
        .value_kind:     hidden_group_size_z
      - .offset:         106
        .size:           2
        .value_kind:     hidden_remainder_x
      - .offset:         108
        .size:           2
        .value_kind:     hidden_remainder_y
      - .offset:         110
        .size:           2
        .value_kind:     hidden_remainder_z
      - .offset:         128
        .size:           8
        .value_kind:     hidden_global_offset_x
      - .offset:         136
        .size:           8
        .value_kind:     hidden_global_offset_y
      - .offset:         144
        .size:           8
        .value_kind:     hidden_global_offset_z
      - .offset:         152
        .size:           2
        .value_kind:     hidden_grid_dims
      - .offset:         168
        .size:           8
        .value_kind:     hidden_hostcall_buffer
    .group_segment_fixed_size: 0
    .kernarg_segment_align: 8
    .kernarg_segment_size: 344
    .language:       OpenCL C
    .language_version:
      - 2
      - 0
    .max_flat_workgroup_size: 256
    .name:           _ZN9rocsolver6v33100L15syevx_sort_eigsIddPdEEviPiPT0_lT1_iilS3_lS3_S3_
    .private_segment_fixed_size: 64
    .sgpr_count:     58
    .sgpr_spill_count: 0
    .symbol:         _ZN9rocsolver6v33100L15syevx_sort_eigsIddPdEEviPiPT0_lT1_iilS3_lS3_S3_.kd
    .uniform_work_group_size: 1
    .uses_dynamic_stack: false
    .vgpr_count:     54
    .vgpr_spill_count: 0
    .wavefront_size: 64
  - .agpr_count:     0
    .args:
      - .offset:         0
        .size:           4
        .value_kind:     by_value
      - .offset:         4
        .size:           4
        .value_kind:     by_value
      - .address_space:  global
        .offset:         8
        .size:           8
        .value_kind:     global_buffer
      - .address_space:  global
        .offset:         16
        .size:           8
        .value_kind:     global_buffer
      - .offset:         24
        .size:           8
        .value_kind:     by_value
      - .address_space:  global
        .offset:         32
        .size:           8
        .value_kind:     global_buffer
      - .offset:         40
        .size:           4
        .value_kind:     by_value
      - .offset:         44
        .size:           4
        .value_kind:     by_value
      - .offset:         48
        .size:           8
        .value_kind:     by_value
      - .address_space:  global
        .offset:         56
        .size:           8
        .value_kind:     global_buffer
      - .offset:         64
        .size:           4
        .value_kind:     hidden_block_count_x
      - .offset:         68
        .size:           4
        .value_kind:     hidden_block_count_y
      - .offset:         72
        .size:           4
        .value_kind:     hidden_block_count_z
      - .offset:         76
        .size:           2
        .value_kind:     hidden_group_size_x
      - .offset:         78
        .size:           2
        .value_kind:     hidden_group_size_y
      - .offset:         80
        .size:           2
        .value_kind:     hidden_group_size_z
      - .offset:         82
        .size:           2
        .value_kind:     hidden_remainder_x
      - .offset:         84
        .size:           2
        .value_kind:     hidden_remainder_y
      - .offset:         86
        .size:           2
        .value_kind:     hidden_remainder_z
      - .offset:         104
        .size:           8
        .value_kind:     hidden_global_offset_x
      - .offset:         112
        .size:           8
        .value_kind:     hidden_global_offset_y
      - .offset:         120
        .size:           8
        .value_kind:     hidden_global_offset_z
      - .offset:         128
        .size:           2
        .value_kind:     hidden_grid_dims
    .group_segment_fixed_size: 0
    .kernarg_segment_align: 8
    .kernarg_segment_size: 320
    .language:       OpenCL C
    .language_version:
      - 2
      - 0
    .max_flat_workgroup_size: 1024
    .name:           _ZN9rocsolver6v33100L19bdsvdx_reorder_vectIdPdEEv13rocblas_fill_iPiPT_lT0_iilS6_
    .private_segment_fixed_size: 0
    .sgpr_count:     35
    .sgpr_spill_count: 0
    .symbol:         _ZN9rocsolver6v33100L19bdsvdx_reorder_vectIdPdEEv13rocblas_fill_iPiPT_lT0_iilS6_.kd
    .uniform_work_group_size: 1
    .uses_dynamic_stack: false
    .vgpr_count:     12
    .vgpr_spill_count: 0
    .wavefront_size: 64
amdhsa.target:   amdgcn-amd-amdhsa--gfx950
amdhsa.version:
  - 1
  - 2
...

	.end_amdgpu_metadata
